;; amdgpu-corpus repo=ROCm/rocFFT kind=compiled arch=gfx1201 opt=O3
	.text
	.amdgcn_target "amdgcn-amd-amdhsa--gfx1201"
	.amdhsa_code_object_version 6
	.protected	bluestein_single_back_len3645_dim1_sp_op_CI_CI ; -- Begin function bluestein_single_back_len3645_dim1_sp_op_CI_CI
	.globl	bluestein_single_back_len3645_dim1_sp_op_CI_CI
	.p2align	8
	.type	bluestein_single_back_len3645_dim1_sp_op_CI_CI,@function
bluestein_single_back_len3645_dim1_sp_op_CI_CI: ; @bluestein_single_back_len3645_dim1_sp_op_CI_CI
; %bb.0:
	s_load_b128 s[16:19], s[0:1], 0x28
	v_mul_u32_u24_e32 v1, 0x10e, v0
	s_mov_b32 s2, exec_lo
	v_mov_b32_e32 v179, 0
	s_delay_alu instid0(VALU_DEP_2) | instskip(NEXT) | instid1(VALU_DEP_1)
	v_lshrrev_b32_e32 v1, 16, v1
	v_add_nc_u32_e32 v178, ttmp9, v1
	s_wait_kmcnt 0x0
	s_delay_alu instid0(VALU_DEP_1)
	v_cmpx_gt_u64_e64 s[16:17], v[178:179]
	s_cbranch_execz .LBB0_2
; %bb.1:
	s_clause 0x1
	s_load_b128 s[4:7], s[0:1], 0x18
	s_load_b128 s[8:11], s[0:1], 0x0
	v_mul_lo_u16 v1, 0xf3, v1
	s_delay_alu instid0(VALU_DEP_1) | instskip(NEXT) | instid1(VALU_DEP_1)
	v_sub_nc_u16 v102, v0, v1
	v_and_b32_e32 v184, 0xffff, v102
	s_wait_kmcnt 0x0
	s_load_b128 s[12:15], s[4:5], 0x0
	s_wait_kmcnt 0x0
	v_mad_co_u64_u32 v[0:1], null, s14, v178, 0
	v_mad_co_u64_u32 v[2:3], null, s12, v184, 0
	s_mul_u64 s[2:3], s[12:13], 0x16c8
	s_mul_i32 s4, s13, 0xffffac78
	s_delay_alu instid0(SALU_CYCLE_1) | instskip(NEXT) | instid1(VALU_DEP_1)
	s_sub_co_i32 s4, s4, s12
	v_mad_co_u64_u32 v[4:5], null, s15, v178, v[1:2]
	s_delay_alu instid0(VALU_DEP_1) | instskip(NEXT) | instid1(VALU_DEP_3)
	v_mov_b32_e32 v1, v4
	v_mad_co_u64_u32 v[5:6], null, s13, v184, v[3:4]
	v_lshlrev_b32_e32 v183, 3, v184
	s_clause 0x2
	global_load_b64 v[152:153], v183, s[8:9] offset:5832
	global_load_b64 v[150:151], v183, s[8:9] offset:11664
	;; [unrolled: 1-line block ×3, first 2 shown]
	v_mov_b32_e32 v3, v5
	v_lshlrev_b64_e32 v[0:1], 3, v[0:1]
	s_clause 0x2
	global_load_b64 v[154:155], v183, s[8:9] offset:23328
	global_load_b64 v[158:159], v183, s[8:9]
	global_load_b64 v[156:157], v183, s[8:9] offset:1944
	v_add_co_u32 v109, null, 0x1e6, v184
	v_lshlrev_b64_e32 v[2:3], 3, v[2:3]
	v_add_co_u32 v0, vcc_lo, s18, v0
	v_add_co_ci_u32_e32 v1, vcc_lo, s19, v1, vcc_lo
	v_add_co_u32 v112, null, 0x3cc, v184
	s_delay_alu instid0(VALU_DEP_3) | instskip(SKIP_1) | instid1(VALU_DEP_3)
	v_add_co_u32 v0, vcc_lo, v0, v2
	s_wait_alu 0xfffd
	v_add_co_ci_u32_e32 v1, vcc_lo, v1, v3, vcc_lo
	v_add_co_u32 v108, null, 0x2d9, v184
	s_delay_alu instid0(VALU_DEP_3) | instskip(SKIP_1) | instid1(VALU_DEP_3)
	v_add_co_u32 v2, vcc_lo, v0, s2
	s_wait_alu 0xfffd
	v_add_co_ci_u32_e32 v3, vcc_lo, s3, v1, vcc_lo
	global_load_b64 v[0:1], v[0:1], off
	global_load_b64 v[160:161], v183, s[8:9] offset:7776
	v_add_co_u32 v4, vcc_lo, v2, s2
	s_wait_alu 0xfffd
	v_add_co_ci_u32_e32 v5, vcc_lo, s3, v3, vcc_lo
	global_load_b64 v[8:9], v[2:3], off
	v_add_co_u32 v6, vcc_lo, v4, s2
	s_wait_alu 0xfffd
	v_add_co_ci_u32_e32 v7, vcc_lo, s3, v5, vcc_lo
	s_clause 0x1
	global_load_b64 v[10:11], v[4:5], off
	global_load_b64 v[2:3], v[6:7], off
	v_add_co_u32 v12, vcc_lo, v6, s2
	s_wait_alu 0xfffd
	v_add_co_ci_u32_e32 v13, vcc_lo, s3, v7, vcc_lo
	v_and_b32_e32 v82, 0xffff, v108
	v_mul_u32_u24_e32 v34, 5, v109
	s_delay_alu instid0(VALU_DEP_3)
	v_mad_co_u64_u32 v[14:15], null, 0xffffac78, s12, v[12:13]
	global_load_b64 v[4:5], v[12:13], off
	v_and_b32_e32 v81, 0xffff, v112
	v_add_nc_u32_e32 v15, s4, v15
	v_add_co_u32 v16, vcc_lo, v14, s2
	s_wait_alu 0xfffd
	s_delay_alu instid0(VALU_DEP_2) | instskip(NEXT) | instid1(VALU_DEP_2)
	v_add_co_ci_u32_e32 v17, vcc_lo, s3, v15, vcc_lo
	v_add_co_u32 v18, vcc_lo, v16, s2
	global_load_b64 v[6:7], v[14:15], off
	s_wait_alu 0xfffd
	v_add_co_ci_u32_e32 v19, vcc_lo, s3, v17, vcc_lo
	v_add_co_u32 v20, vcc_lo, v18, s2
	s_clause 0x1
	global_load_b64 v[162:163], v183, s[8:9] offset:13608
	global_load_b64 v[164:165], v183, s[8:9] offset:25272
	global_load_b64 v[12:13], v[16:17], off
	s_wait_alu 0xfffd
	v_add_co_ci_u32_e32 v21, vcc_lo, s3, v19, vcc_lo
	v_add_co_u32 v14, vcc_lo, v20, s2
	s_clause 0x3
	global_load_b64 v[166:167], v183, s[8:9] offset:3888
	global_load_b64 v[168:169], v183, s[8:9] offset:9720
	;; [unrolled: 1-line block ×4, first 2 shown]
	global_load_b64 v[28:29], v[18:19], off
	global_load_b64 v[174:175], v183, s[8:9] offset:15552
	global_load_b64 v[26:27], v[20:21], off
	s_wait_alu 0xfffd
	v_add_co_ci_u32_e32 v15, vcc_lo, s3, v21, vcc_lo
	v_lshlrev_b32_e32 v129, 3, v34
	s_delay_alu instid0(VALU_DEP_2) | instskip(SKIP_4) | instid1(VALU_DEP_2)
	v_mad_co_u64_u32 v[16:17], null, 0xffffac78, s12, v[14:15]
	global_load_b64 v[24:25], v[14:15], off
	v_add_nc_u32_e32 v17, s4, v17
	v_add_co_u32 v14, vcc_lo, v16, s2
	s_wait_alu 0xfffd
	v_add_co_ci_u32_e32 v15, vcc_lo, s3, v17, vcc_lo
	global_load_b64 v[18:19], v[16:17], off
	v_add_co_u32 v16, vcc_lo, v14, s2
	s_wait_alu 0xfffd
	v_add_co_ci_u32_e32 v17, vcc_lo, s3, v15, vcc_lo
	global_load_b64 v[20:21], v[14:15], off
	;; [unrolled: 4-line block ×4, first 2 shown]
	global_load_b64 v[176:177], v183, s[8:9] offset:27216
	global_load_b64 v[22:23], v[30:31], off
	v_mul_lo_u16 v31, v102, 5
	v_and_b32_e32 v30, 0xff, v102
	v_add_co_u32 v103, s2, 0xf3, v184
	s_load_b128 s[4:7], s[6:7], 0x0
	s_delay_alu instid0(VALU_DEP_3) | instskip(NEXT) | instid1(VALU_DEP_3)
	v_and_b32_e32 v32, 0xffff, v31
	v_mul_lo_u16 v31, 0xcd, v30
	s_delay_alu instid0(VALU_DEP_3) | instskip(SKIP_2) | instid1(VALU_DEP_4)
	v_mul_u32_u24_e32 v33, 5, v103
	v_add_co_ci_u32_e64 v80, null, 0, 0, s2
	v_cmp_gt_u16_e32 vcc_lo, 0x87, v102
	v_lshrrev_b16 v37, 10, v31
	v_and_b32_e32 v31, 0xffff, v109
	v_lshlrev_b32_e32 v130, 3, v33
	s_delay_alu instid0(VALU_DEP_3) | instskip(NEXT) | instid1(VALU_DEP_3)
	v_mul_lo_u16 v34, v37, 5
	v_mul_u32_u24_e32 v33, 0xcccd, v31
	s_delay_alu instid0(VALU_DEP_2) | instskip(NEXT) | instid1(VALU_DEP_2)
	v_sub_nc_u16 v40, v102, v34
	v_lshrrev_b32_e32 v39, 18, v33
	v_mul_u32_u24_e32 v33, 0xcccd, v81
	s_delay_alu instid0(VALU_DEP_2) | instskip(NEXT) | instid1(VALU_DEP_2)
	v_mul_lo_u16 v34, v39, 5
	v_lshrrev_b32_e32 v42, 18, v33
	s_delay_alu instid0(VALU_DEP_2)
	v_sub_nc_u16 v45, v109, v34
	s_wait_loadcnt 0x17
	v_mul_f32_e32 v33, v1, v159
	v_mul_f32_e32 v34, v0, v159
	v_add_nc_u32_e32 v121, 0x3500, v183
	v_add_nc_u32_e32 v185, 0x4bc0, v183
	s_delay_alu instid0(VALU_DEP_4)
	v_dual_fmac_f32 v33, v0, v158 :: v_dual_add_nc_u32 v120, 0x6280, v183
	v_lshlrev_b32_e32 v128, 3, v32
	v_and_b32_e32 v32, 0xffff, v103
	s_wait_loadcnt 0x15
	v_mul_f32_e32 v0, v9, v153
	v_fma_f32 v34, v1, v158, -v34
	v_add_nc_u32_e32 v190, 0x2d80, v183
	v_add_nc_u32_e32 v187, 0x5b00, v183
	v_mul_u32_u24_e32 v35, 0xcccd, v32
	s_wait_loadcnt 0x14
	v_dual_mul_f32 v47, v10, v151 :: v_dual_fmac_f32 v0, v8, v152
	v_add_nc_u32_e32 v188, 0x3c80, v183
	s_delay_alu instid0(VALU_DEP_3) | instskip(SKIP_1) | instid1(VALU_DEP_2)
	v_lshrrev_b32_e32 v38, 18, v35
	v_mul_u32_u24_e32 v35, 0xcccd, v82
	v_mul_lo_u16 v36, v38, 5
	s_delay_alu instid0(VALU_DEP_2) | instskip(SKIP_2) | instid1(VALU_DEP_4)
	v_lshrrev_b32_e32 v41, 18, v35
	v_mul_f32_e32 v35, v11, v151
	v_add_nc_u32_e32 v186, 0x1e00, v183
	v_sub_nc_u16 v43, v103, v36
	s_delay_alu instid0(VALU_DEP_3) | instskip(SKIP_2) | instid1(VALU_DEP_3)
	v_dual_mul_f32 v36, v8, v153 :: v_dual_fmac_f32 v35, v10, v150
	s_wait_loadcnt 0x13
	v_dual_mul_f32 v8, v3, v149 :: v_dual_add_nc_u32 v189, 0xf00, v183
	v_lshlrev_b16 v46, 1, v43
	s_delay_alu instid0(VALU_DEP_3) | instskip(SKIP_1) | instid1(VALU_DEP_4)
	v_fma_f32 v1, v9, v152, -v36
	v_mul_f32_e32 v9, v2, v149
	v_fmac_f32_e32 v8, v2, v148
	v_fma_f32 v36, v11, v150, -v47
	s_wait_loadcnt 0x12
	v_mul_f32_e32 v2, v5, v155
	s_wait_loadcnt 0x11
	v_dual_mul_f32 v11, v4, v155 :: v_dual_mul_f32 v10, v7, v157
	v_mul_f32_e32 v47, v6, v157
	v_fma_f32 v9, v3, v148, -v9
	v_fmac_f32_e32 v2, v4, v154
	s_wait_loadcnt 0xe
	v_mul_f32_e32 v4, v13, v161
	v_fma_f32 v3, v5, v154, -v11
	v_fmac_f32_e32 v10, v6, v156
	v_fma_f32 v11, v7, v156, -v47
	ds_store_b64 v183, v[0:1] offset:5832
	ds_store_b64 v183, v[35:36] offset:11664
	;; [unrolled: 1-line block ×4, first 2 shown]
	s_wait_loadcnt 0x9
	v_mul_f32_e32 v0, v29, v163
	s_wait_loadcnt 0x7
	v_dual_mul_f32 v2, v27, v171 :: v_dual_mul_f32 v5, v12, v161
	ds_store_2addr_b64 v183, v[33:34], v[10:11] offset1:243
	v_mul_f32_e32 v1, v28, v163
	v_dual_fmac_f32 v4, v12, v160 :: v_dual_mul_f32 v3, v26, v171
	v_fma_f32 v5, v13, v160, -v5
	s_wait_loadcnt 0x6
	v_mul_f32_e32 v6, v25, v165
	v_mul_f32_e32 v7, v24, v165
	v_fma_f32 v1, v29, v162, -v1
	v_fma_f32 v3, v27, v170, -v3
	v_mul_lo_u16 v44, v41, 5
	v_fmac_f32_e32 v6, v24, v164
	v_fma_f32 v7, v25, v164, -v7
	v_and_b32_e32 v33, 0xff, v40
	s_delay_alu instid0(VALU_DEP_4) | instskip(NEXT) | instid1(VALU_DEP_2)
	v_sub_nc_u16 v34, v108, v44
	v_lshlrev_b32_e32 v35, 4, v33
	s_wait_loadcnt 0x5
	v_mul_f32_e32 v9, v18, v167
	v_mul_f32_e32 v8, v19, v167
	v_lshlrev_b16 v40, 1, v34
	s_wait_loadcnt 0x4
	v_mul_f32_e32 v11, v20, v169
	v_fmac_f32_e32 v0, v28, v162
	v_mul_f32_e32 v10, v21, v169
	v_fma_f32 v9, v19, v166, -v9
	v_fmac_f32_e32 v8, v18, v166
	s_wait_loadcnt 0x3
	v_mul_f32_e32 v12, v15, v175
	v_dual_mul_f32 v13, v14, v175 :: v_dual_fmac_f32 v10, v20, v168
	v_fma_f32 v11, v21, v168, -v11
	s_wait_loadcnt 0x2
	v_dual_mul_f32 v19, v16, v173 :: v_dual_fmac_f32 v2, v26, v170
	v_fmac_f32_e32 v12, v14, v174
	v_mul_f32_e32 v14, v17, v173
	s_wait_loadcnt 0x0
	v_mul_f32_e32 v18, v23, v177
	v_mul_f32_e32 v20, v22, v177
	v_fma_f32 v13, v15, v174, -v13
	v_fma_f32 v15, v17, v172, -v19
	v_fmac_f32_e32 v14, v16, v172
	v_fmac_f32_e32 v18, v22, v176
	v_fma_f32 v19, v23, v176, -v20
	ds_store_b64 v183, v[8:9] offset:3888
	ds_store_2addr_b64 v186, v[4:5], v[10:11] offset0:12 offset1:255
	ds_store_2addr_b64 v121, v[0:1], v[12:13] offset0:5 offset1:248
	;; [unrolled: 1-line block ×4, first 2 shown]
	global_wb scope:SCOPE_SE
	s_wait_dscnt 0x0
	s_wait_kmcnt 0x0
	s_barrier_signal -1
	s_barrier_wait -1
	global_inv scope:SCOPE_SE
	ds_load_2addr_b64 v[0:3], v183 offset1:243
	ds_load_2addr_b64 v[4:7], v189 offset0:6 offset1:249
	ds_load_2addr_b64 v[8:11], v190 offset0:2 offset1:245
	;; [unrolled: 1-line block ×4, first 2 shown]
	v_mul_lo_u16 v20, v42, 5
	v_lshlrev_b16 v21, 1, v45
	v_and_b32_e32 v22, 0xffff, v46
	s_delay_alu instid0(VALU_DEP_3) | instskip(NEXT) | instid1(VALU_DEP_3)
	v_sub_nc_u16 v36, v112, v20
	v_and_b32_e32 v44, 0xffff, v21
	s_delay_alu instid0(VALU_DEP_3)
	v_lshlrev_b32_e32 v46, 3, v22
	ds_load_2addr_b64 v[20:23], v186 offset0:12 offset1:255
	ds_load_2addr_b64 v[24:27], v185 offset0:6 offset1:249
	ds_load_b64 v[28:29], v183 offset:27216
	global_wb scope:SCOPE_SE
	s_wait_dscnt 0x0
	s_barrier_signal -1
	s_barrier_wait -1
	global_inv scope:SCOPE_SE
	v_add_f32_e32 v47, v0, v6
	v_dual_sub_f32 v51, v6, v8 :: v_dual_add_f32 v48, v8, v14
	v_sub_f32_e32 v52, v16, v14
	v_dual_sub_f32 v54, v8, v6 :: v_dual_sub_f32 v55, v14, v16
	v_add_f32_e32 v56, v1, v7
	v_dual_add_f32 v57, v9, v15 :: v_dual_add_f32 v62, v7, v17
	v_add_f32_e32 v53, v6, v16
	v_add_f32_e32 v79, v21, v19
	v_sub_f32_e32 v87, v13, v27
	v_dual_add_f32 v75, v11, v25 :: v_dual_add_f32 v66, v10, v24
	v_sub_f32_e32 v91, v12, v22
	v_dual_sub_f32 v49, v7, v17 :: v_dual_sub_f32 v50, v9, v15
	v_dual_add_f32 v71, v20, v18 :: v_dual_sub_f32 v58, v6, v16
	v_sub_f32_e32 v83, v25, v19
	v_dual_sub_f32 v59, v8, v14 :: v_dual_sub_f32 v60, v7, v9
	v_add_f32_e32 v85, v12, v26
	v_sub_f32_e32 v61, v17, v15
	v_dual_sub_f32 v63, v9, v7 :: v_dual_sub_f32 v64, v15, v17
	v_sub_f32_e32 v89, v28, v26
	v_add_f32_e32 v65, v2, v20
	v_dual_sub_f32 v67, v21, v19 :: v_dual_sub_f32 v68, v11, v25
	v_add_f32_e32 v93, v5, v23
	v_dual_sub_f32 v69, v20, v10 :: v_dual_sub_f32 v70, v18, v24
	v_dual_sub_f32 v97, v29, v27 :: v_dual_sub_f32 v72, v10, v20
	v_dual_sub_f32 v73, v24, v18 :: v_dual_add_f32 v74, v3, v21
	v_dual_sub_f32 v95, v22, v28 :: v_dual_sub_f32 v76, v20, v18
	v_sub_f32_e32 v99, v27, v29
	v_dual_sub_f32 v77, v10, v24 :: v_dual_sub_f32 v20, v21, v11
	v_add_f32_e32 v47, v47, v8
	v_sub_f32_e32 v21, v11, v21
	v_sub_f32_e32 v78, v19, v25
	v_add_f32_e32 v84, v4, v22
	v_sub_f32_e32 v88, v22, v12
	v_add_f32_e32 v90, v22, v28
	v_fma_f32 v6, -0.5, v48, v0
	v_fma_f32 v7, -0.5, v57, v1
	v_add_f32_e32 v98, v23, v29
	v_sub_f32_e32 v22, v23, v13
	v_dual_add_f32 v48, v51, v52 :: v_dual_add_f32 v51, v54, v55
	v_sub_f32_e32 v92, v26, v28
	v_dual_add_f32 v52, v56, v9 :: v_dual_add_f32 v47, v47, v14
	v_fma_f32 v1, -0.5, v62, v1
	v_fma_f32 v9, -0.5, v75, v3
	v_fmac_f32_e32 v3, -0.5, v79
	v_add_f32_e32 v94, v13, v27
	v_fma_f32 v0, -0.5, v53, v0
	v_fma_f32 v8, -0.5, v66, v2
	v_dual_sub_f32 v86, v23, v29 :: v_dual_add_f32 v55, v65, v10
	v_sub_f32_e32 v23, v13, v23
	v_dual_add_f32 v53, v60, v61 :: v_dual_add_f32 v54, v63, v64
	v_add_f32_e32 v56, v69, v70
	v_fma_f32 v2, -0.5, v71, v2
	v_dual_add_f32 v60, v74, v11 :: v_dual_add_f32 v55, v55, v24
	v_add_f32_e32 v61, v20, v78
	v_dual_sub_f32 v96, v12, v26 :: v_dual_add_f32 v65, v91, v92
	v_dual_add_f32 v63, v84, v12 :: v_dual_add_f32 v66, v93, v13
	v_fma_f32 v11, -0.5, v94, v5
	v_fmamk_f32 v13, v58, 0xbf737871, v7
	v_dual_fmac_f32 v5, -0.5, v98 :: v_dual_add_f32 v52, v52, v15
	v_fmamk_f32 v15, v59, 0x3f737871, v1
	v_add_f32_e32 v57, v72, v73
	v_fma_f32 v10, -0.5, v85, v4
	v_fma_f32 v4, -0.5, v90, v4
	v_dual_fmamk_f32 v12, v49, 0x3f737871, v6 :: v_dual_add_f32 v63, v63, v26
	v_dual_add_f32 v64, v88, v89 :: v_dual_fmac_f32 v1, 0xbf737871, v59
	v_fmac_f32_e32 v6, 0xbf737871, v49
	v_fmamk_f32 v14, v50, 0xbf737871, v0
	v_fmac_f32_e32 v0, 0x3f737871, v50
	v_dual_fmac_f32 v7, 0x3f737871, v58 :: v_dual_add_f32 v62, v21, v83
	v_fmamk_f32 v21, v76, 0xbf737871, v9
	v_dual_fmamk_f32 v20, v67, 0x3f737871, v8 :: v_dual_add_f32 v69, v22, v97
	v_dual_add_f32 v70, v23, v99 :: v_dual_fmamk_f32 v23, v77, 0x3f737871, v3
	v_dual_add_f32 v60, v60, v25 :: v_dual_fmac_f32 v13, 0xbf167918, v59
	v_fmac_f32_e32 v9, 0x3f737871, v76
	v_dual_fmac_f32 v3, 0xbf737871, v77 :: v_dual_add_f32 v66, v66, v27
	v_fmac_f32_e32 v15, 0xbf167918, v58
	v_fmamk_f32 v22, v68, 0xbf737871, v2
	v_dual_fmac_f32 v2, 0x3f737871, v68 :: v_dual_add_f32 v19, v60, v19
	v_fmamk_f32 v27, v96, 0x3f737871, v5
	v_dual_fmac_f32 v5, 0xbf737871, v96 :: v_dual_fmac_f32 v8, 0xbf737871, v67
	v_dual_add_f32 v17, v52, v17 :: v_dual_fmamk_f32 v24, v86, 0x3f737871, v10
	v_fmac_f32_e32 v10, 0xbf737871, v86
	v_fmamk_f32 v26, v87, 0xbf737871, v4
	v_fmac_f32_e32 v4, 0x3f737871, v87
	v_fmamk_f32 v25, v95, 0xbf737871, v11
	v_fmac_f32_e32 v11, 0x3f737871, v95
	v_dual_fmac_f32 v12, 0x3f167918, v50 :: v_dual_fmac_f32 v9, 0x3f167918, v77
	v_dual_fmac_f32 v6, 0xbf167918, v50 :: v_dual_fmac_f32 v21, 0xbf167918, v77
	;; [unrolled: 1-line block ×4, first 2 shown]
	v_dual_add_f32 v16, v47, v16 :: v_dual_fmac_f32 v7, 0x3f167918, v59
	v_dual_fmac_f32 v20, 0x3f167918, v68 :: v_dual_fmac_f32 v5, 0x3f167918, v95
	v_dual_add_f32 v18, v55, v18 :: v_dual_fmac_f32 v3, 0x3f167918, v76
	v_dual_fmac_f32 v8, 0xbf167918, v68 :: v_dual_fmac_f32 v27, 0xbf167918, v95
	v_dual_fmac_f32 v2, 0xbf167918, v67 :: v_dual_fmac_f32 v25, 0xbf167918, v96
	v_dual_add_f32 v29, v66, v29 :: v_dual_fmac_f32 v22, 0x3f167918, v67
	v_fmac_f32_e32 v11, 0x3f167918, v96
	v_dual_add_f32 v28, v63, v28 :: v_dual_fmac_f32 v13, 0x3e9e377a, v53
	v_fmac_f32_e32 v24, 0x3f167918, v87
	v_fmac_f32_e32 v10, 0xbf167918, v87
	;; [unrolled: 1-line block ×4, first 2 shown]
	v_dual_fmac_f32 v12, 0x3e9e377a, v48 :: v_dual_fmac_f32 v7, 0x3e9e377a, v53
	v_dual_fmac_f32 v6, 0x3e9e377a, v48 :: v_dual_fmac_f32 v15, 0x3e9e377a, v54
	;; [unrolled: 1-line block ×11, first 2 shown]
	v_fmac_f32_e32 v4, 0x3e9e377a, v65
	ds_store_2addr_b64 v128, v[16:17], v[12:13] offset1:1
	ds_store_2addr_b64 v128, v[14:15], v[0:1] offset0:2 offset1:3
	ds_store_b64 v128, v[6:7] offset:32
	ds_store_2addr_b64 v130, v[18:19], v[20:21] offset1:1
	ds_store_2addr_b64 v130, v[22:23], v[2:3] offset0:2 offset1:3
	ds_store_b64 v130, v[8:9] offset:32
	ds_store_b64 v129, v[10:11] offset:32
	ds_store_2addr_b64 v129, v[28:29], v[24:25] offset1:1
	ds_store_2addr_b64 v129, v[26:27], v[4:5] offset0:2 offset1:3
	global_wb scope:SCOPE_SE
	s_wait_dscnt 0x0
	s_barrier_signal -1
	s_barrier_wait -1
	global_inv scope:SCOPE_SE
	s_clause 0x1
	global_load_b128 v[64:67], v46, s[10:11]
	global_load_b128 v[60:63], v35, s[10:11]
	v_lshlrev_b32_e32 v2, 3, v44
	v_lshlrev_b16 v0, 1, v36
	v_mul_u32_u24_e32 v3, 0x8889, v31
	v_mul_u32_u24_e32 v4, 0x8889, v82
	;; [unrolled: 1-line block ×3, first 2 shown]
	global_load_b128 v[68:71], v2, s[10:11]
	v_and_b32_e32 v1, 0xffff, v40
	v_and_b32_e32 v0, 0xffff, v0
	v_mul_u32_u24_e32 v2, 0x8889, v32
	v_lshrrev_b32_e32 v83, 19, v3
	v_lshrrev_b32_e32 v84, 19, v4
	v_lshlrev_b32_e32 v1, 3, v1
	v_lshlrev_b32_e32 v0, 3, v0
	s_clause 0x1
	global_load_b128 v[72:75], v1, s[10:11]
	global_load_b128 v[76:79], v0, s[10:11]
	v_mul_lo_u16 v0, 0x89, v30
	v_lshrrev_b32_e32 v85, 19, v5
	v_mul_lo_u16 v3, v84, 15
	s_delay_alu instid0(VALU_DEP_3)
	v_lshrrev_b16 v35, 11, v0
	v_and_b32_e32 v0, 0xffff, v37
	v_lshrrev_b32_e32 v37, 19, v2
	v_mul_lo_u16 v2, v83, 15
	v_mul_lo_u16 v4, v85, 15
	;; [unrolled: 1-line block ×3, first 2 shown]
	v_sub_nc_u16 v89, v108, v3
	v_mul_u32_u24_e32 v0, 15, v0
	v_sub_nc_u16 v88, v109, v2
	v_sub_nc_u16 v90, v112, v4
	;; [unrolled: 1-line block ×3, first 2 shown]
	v_lshlrev_b16 v6, 4, v89
	v_add_lshl_u32 v201, v0, v33, 3
	v_lshlrev_b16 v5, 4, v88
	v_lshlrev_b16 v7, 4, v90
	v_and_b32_e32 v86, 0xff, v1
	v_mul_lo_u16 v1, v37, 15
	v_mad_u16 v0, v38, 15, v43
	v_mad_u16 v3, v42, 15, v36
	v_and_b32_e32 v36, 0xffff, v5
	v_and_b32_e32 v38, 0xffff, v6
	v_sub_nc_u16 v87, v103, v1
	v_mad_u16 v1, v39, 15, v45
	v_and_b32_e32 v39, 0xffff, v7
	v_and_b32_e32 v8, 0xffff, v0
	v_mad_u16 v2, v41, 15, v34
	v_lshlrev_b16 v4, 4, v87
	s_delay_alu instid0(VALU_DEP_1)
	v_and_b32_e32 v16, 0xffff, v4
	ds_load_2addr_b64 v[4:7], v185 offset0:6 offset1:249
	v_and_b32_e32 v9, 0xffff, v1
	v_add_co_u32 v28, s2, s10, v16
	s_wait_alu 0xf1ff
	v_add_co_ci_u32_e64 v29, null, s11, 0, s2
	s_wait_loadcnt_dscnt 0x400
	v_mul_f32_e32 v47, v7, v67
	s_wait_loadcnt 0x3
	v_dual_mul_f32 v44, v4, v63 :: v_dual_lshlrev_b32 v205, 3, v9
	v_mul_f32_e32 v48, v6, v67
	v_mul_f32_e32 v43, v5, v63
	v_fma_f32 v6, v6, v66, -v47
	v_lshlrev_b32_e32 v204, 3, v8
	ds_load_2addr_b64 v[8:11], v190 offset0:2 offset1:245
	s_wait_dscnt 0x0
	v_dual_mul_f32 v46, v8, v65 :: v_dual_and_b32 v13, 0xffff, v3
	s_wait_loadcnt 0x2
	v_mul_f32_e32 v50, v10, v69
	v_mul_f32_e32 v49, v11, v69
	s_delay_alu instid0(VALU_DEP_3) | instskip(NEXT) | instid1(VALU_DEP_3)
	v_lshlrev_b32_e32 v203, 3, v13
	v_dual_mul_f32 v45, v9, v65 :: v_dual_fmac_f32 v50, v11, v68
	v_fmac_f32_e32 v44, v5, v62
	v_and_b32_e32 v12, 0xffff, v2
	ds_load_2addr_b64 v[0:3], v186 offset0:12 offset1:255
	v_fma_f32 v5, v10, v68, -v49
	v_lshlrev_b32_e32 v206, 3, v12
	ds_load_2addr_b64 v[12:15], v187 offset0:4 offset1:247
	ds_load_2addr_b64 v[16:19], v188 offset0:8 offset1:251
	ds_load_2addr_b64 v[20:23], v183 offset1:243
	ds_load_2addr_b64 v[24:27], v189 offset0:6 offset1:249
	ds_load_b64 v[33:34], v183 offset:27216
	v_fmac_f32_e32 v46, v9, v64
	global_wb scope:SCOPE_SE
	s_wait_loadcnt_dscnt 0x0
	s_barrier_signal -1
	s_barrier_wait -1
	global_inv scope:SCOPE_SE
	v_mul_f32_e32 v42, v2, v61
	v_mul_f32_e32 v41, v3, v61
	v_mul_f32_e32 v53, v17, v73
	v_dual_mul_f32 v54, v16, v73 :: v_dual_add_f32 v47, v25, v50
	v_mul_f32_e32 v51, v13, v71
	v_mul_f32_e32 v55, v15, v75
	v_dual_mul_f32 v91, v33, v79 :: v_dual_fmac_f32 v42, v3, v60
	v_fma_f32 v3, v4, v62, -v43
	v_fma_f32 v4, v8, v64, -v45
	;; [unrolled: 1-line block ×3, first 2 shown]
	s_delay_alu instid0(VALU_DEP_4) | instskip(SKIP_1) | instid1(VALU_DEP_3)
	v_dual_fmac_f32 v91, v34, v78 :: v_dual_fmac_f32 v54, v17, v72
	v_mul_f32_e32 v57, v19, v77
	v_dual_mul_f32 v58, v18, v77 :: v_dual_add_f32 v45, v5, v8
	v_fmac_f32_e32 v48, v7, v66
	v_mul_f32_e32 v52, v12, v71
	v_fma_f32 v7, v16, v72, -v53
	v_fma_f32 v12, v14, v74, -v55
	v_mul_f32_e32 v56, v14, v75
	v_mul_f32_e32 v59, v34, v79
	v_fma_f32 v2, v2, v60, -v41
	v_fma_f32 v9, v18, v76, -v57
	v_add_f32_e32 v53, v7, v12
	v_fmac_f32_e32 v56, v15, v74
	v_fma_f32 v14, v33, v78, -v59
	v_add_f32_e32 v57, v27, v54
	v_fmac_f32_e32 v58, v19, v76
	v_sub_f32_e32 v18, v2, v3
	v_sub_f32_e32 v55, v54, v56
	v_dual_add_f32 v41, v46, v48 :: v_dual_fmac_f32 v52, v13, v70
	v_sub_f32_e32 v59, v7, v12
	v_add_f32_e32 v34, v23, v46
	v_dual_add_f32 v10, v20, v2 :: v_dual_add_f32 v51, v26, v7
	v_add_f32_e32 v13, v21, v42
	v_add_f32_e32 v93, v9, v14
	s_delay_alu instid0(VALU_DEP_4)
	v_add_f32_e32 v7, v34, v48
	v_add_f32_e32 v49, v50, v52
	;; [unrolled: 1-line block ×4, first 2 shown]
	v_dual_add_f32 v11, v2, v3 :: v_dual_lshlrev_b32 v40, 4, v86
	v_dual_sub_f32 v17, v42, v44 :: v_dual_sub_f32 v42, v4, v6
	v_add_f32_e32 v43, v24, v5
	v_fmac_f32_e32 v23, -0.5, v41
	v_sub_f32_e32 v33, v46, v48
	v_sub_f32_e32 v46, v50, v52
	;; [unrolled: 1-line block ×3, first 2 shown]
	v_add_f32_e32 v92, v0, v9
	v_sub_f32_e32 v96, v9, v14
	v_dual_add_f32 v2, v10, v3 :: v_dual_add_f32 v3, v13, v44
	v_fma_f32 v5, -0.5, v15, v21
	v_add_f32_e32 v9, v47, v52
	v_dual_add_f32 v15, v95, v91 :: v_dual_add_f32 v54, v54, v56
	v_add_f32_e32 v19, v4, v6
	v_fma_f32 v10, -0.5, v45, v24
	v_fma_f32 v26, -0.5, v53, v26
	;; [unrolled: 1-line block ×3, first 2 shown]
	v_dual_fmac_f32 v27, -0.5, v54 :: v_dual_sub_f32 v94, v58, v91
	v_add_f32_e32 v58, v58, v91
	v_add_f32_e32 v16, v22, v4
	v_fma_f32 v4, -0.5, v11, v20
	v_fma_f32 v22, -0.5, v19, v22
	;; [unrolled: 1-line block ×3, first 2 shown]
	v_fmamk_f32 v25, v59, 0xbf5db3d7, v27
	v_fmac_f32_e32 v1, -0.5, v58
	v_dual_add_f32 v6, v16, v6 :: v_dual_fmac_f32 v27, 0x3f5db3d7, v59
	v_fmamk_f32 v16, v17, 0x3f5db3d7, v4
	v_dual_fmac_f32 v4, 0xbf5db3d7, v17 :: v_dual_fmamk_f32 v17, v18, 0xbf5db3d7, v5
	v_dual_fmac_f32 v5, 0x3f5db3d7, v18 :: v_dual_fmamk_f32 v18, v33, 0x3f5db3d7, v22
	v_dual_fmamk_f32 v19, v42, 0xbf5db3d7, v23 :: v_dual_fmac_f32 v22, 0xbf5db3d7, v33
	v_dual_fmac_f32 v23, 0x3f5db3d7, v42 :: v_dual_fmamk_f32 v20, v46, 0x3f5db3d7, v10
	v_fmamk_f32 v21, v50, 0xbf5db3d7, v11
	v_dual_fmac_f32 v11, 0x3f5db3d7, v50 :: v_dual_add_f32 v8, v43, v8
	v_dual_fmamk_f32 v33, v94, 0x3f5db3d7, v0 :: v_dual_add_f32 v12, v51, v12
	v_dual_add_f32 v13, v57, v56 :: v_dual_add_f32 v14, v92, v14
	v_fmac_f32_e32 v10, 0xbf5db3d7, v46
	v_fmamk_f32 v24, v55, 0x3f5db3d7, v26
	v_fmac_f32_e32 v26, 0xbf5db3d7, v55
	v_fmac_f32_e32 v0, 0xbf5db3d7, v94
	v_fmamk_f32 v34, v96, 0xbf5db3d7, v1
	v_fmac_f32_e32 v1, 0x3f5db3d7, v96
	ds_store_2addr_b64 v201, v[2:3], v[16:17] offset1:5
	ds_store_b64 v201, v[4:5] offset:80
	ds_store_2addr_b64 v204, v[6:7], v[18:19] offset1:5
	ds_store_b64 v204, v[22:23] offset:80
	;; [unrolled: 2-line block ×5, first 2 shown]
	global_wb scope:SCOPE_SE
	s_wait_dscnt 0x0
	s_barrier_signal -1
	s_barrier_wait -1
	global_inv scope:SCOPE_SE
	global_load_b128 v[56:59], v40, s[10:11] offset:80
	v_add_co_u32 v0, s2, s10, v36
	s_wait_alu 0xf1ff
	v_add_co_ci_u32_e64 v1, null, s11, 0, s2
	v_add_co_u32 v2, s2, s10, v38
	s_wait_alu 0xf1ff
	v_add_co_ci_u32_e64 v3, null, s11, 0, s2
	global_load_b128 v[48:51], v[0:1], off offset:80
	v_add_co_u32 v0, s2, s10, v39
	global_load_b128 v[52:55], v[28:29], off offset:80
	s_wait_alu 0xf1ff
	v_add_co_ci_u32_e64 v1, null, s11, 0, s2
	s_clause 0x1
	global_load_b128 v[44:47], v[2:3], off offset:80
	global_load_b128 v[40:43], v[0:1], off offset:80
	v_mul_lo_u16 v0, 0x6d, v30
	v_mul_u32_u24_e32 v3, 0x2d83, v32
	v_and_b32_e32 v1, 0xffff, v35
	v_mul_u32_u24_e32 v4, 0x2d83, v31
	v_mul_u32_u24_e32 v5, 0x2d83, v82
	v_lshrrev_b16 v0, 8, v0
	v_lshrrev_b32_e32 v30, 19, v3
	v_mul_u32_u24_e32 v1, 45, v1
	v_mul_u32_u24_e32 v6, 0x2d83, v81
	v_lshrrev_b32_e32 v35, 19, v4
	v_sub_nc_u16 v2, v102, v0
	v_mul_lo_u16 v3, v30, 45
	v_add_lshl_u32 v196, v1, v86, 3
	v_mad_u16 v1, v37, 45, v87
	v_lshrrev_b32_e32 v36, 19, v5
	v_lshrrev_b16 v2, 1, v2
	v_sub_nc_u16 v39, v103, v3
	v_mad_u16 v3, v84, 45, v89
	v_and_b32_e32 v1, 0xffff, v1
	v_lshrrev_b32_e32 v38, 19, v6
	v_and_b32_e32 v2, 0x7f, v2
	v_mul_lo_u16 v4, v35, 45
	v_and_b32_e32 v8, 0xffff, v3
	v_lshlrev_b32_e32 v198, 3, v1
	v_mul_lo_u16 v5, v36, 45
	v_add_nc_u16 v0, v2, v0
	v_mad_u16 v2, v83, 45, v88
	v_mul_lo_u16 v6, v38, 45
	v_sub_nc_u16 v86, v109, v4
	v_sub_nc_u16 v94, v108, v5
	v_lshrrev_b16 v37, 5, v0
	v_lshlrev_b16 v0, 4, v39
	v_and_b32_e32 v2, 0xffff, v2
	v_sub_nc_u16 v95, v112, v6
	v_mad_u16 v4, v85, 45, v90
	v_mul_lo_u16 v3, v37, 45
	v_and_b32_e32 v12, 0xffff, v0
	v_lshlrev_b32_e32 v197, 3, v2
	v_lshlrev_b16 v5, 4, v86
	v_lshlrev_b16 v6, 4, v94
	v_sub_nc_u16 v13, v102, v3
	ds_load_2addr_b64 v[0:3], v186 offset0:12 offset1:255
	v_lshlrev_b16 v7, 4, v95
	v_and_b32_e32 v9, 0xffff, v4
	v_and_b32_e32 v83, 0xffff, v5
	v_lshlrev_b32_e32 v199, 3, v8
	v_add_co_u32 v28, s2, s10, v12
	s_wait_alu 0xf1ff
	v_add_co_ci_u32_e64 v29, null, s11, 0, s2
	s_wait_loadcnt_dscnt 0x400
	v_mul_f32_e32 v89, v3, v57
	v_mul_f32_e32 v90, v2, v57
	s_delay_alu instid0(VALU_DEP_2) | instskip(SKIP_1) | instid1(VALU_DEP_3)
	v_fma_f32 v2, v2, v56, -v89
	v_and_b32_e32 v84, 0xffff, v6
	v_fmac_f32_e32 v90, v3, v56
	v_lshlrev_b32_e32 v200, 3, v9
	ds_load_2addr_b64 v[8:11], v190 offset0:2 offset1:245
	v_and_b32_e32 v85, 0xffff, v7
	ds_load_2addr_b64 v[4:7], v185 offset0:6 offset1:249
	v_and_b32_e32 v87, 0xff, v13
	ds_load_2addr_b64 v[12:15], v187 offset0:4 offset1:247
	ds_load_2addr_b64 v[16:19], v188 offset0:8 offset1:251
	ds_load_2addr_b64 v[20:23], v183 offset1:243
	ds_load_2addr_b64 v[24:27], v189 offset0:6 offset1:249
	ds_load_b64 v[33:34], v183 offset:27216
	global_wb scope:SCOPE_SE
	s_wait_loadcnt_dscnt 0x0
	s_barrier_signal -1
	s_barrier_wait -1
	global_inv scope:SCOPE_SE
	v_mul_f32_e32 v93, v9, v53
	v_mul_f32_e32 v96, v8, v53
	;; [unrolled: 1-line block ×5, first 2 shown]
	v_dual_mul_f32 v92, v4, v59 :: v_dual_mul_f32 v99, v11, v49
	v_mul_f32_e32 v105, v17, v45
	v_mul_f32_e32 v113, v18, v41
	v_fma_f32 v3, v4, v58, -v91
	v_fma_f32 v4, v8, v52, -v93
	;; [unrolled: 1-line block ×3, first 2 shown]
	v_dual_mul_f32 v100, v10, v49 :: v_dual_mul_f32 v101, v13, v51
	v_mul_f32_e32 v111, v19, v41
	v_fmac_f32_e32 v113, v19, v40
	s_delay_alu instid0(VALU_DEP_3)
	v_dual_add_f32 v19, v4, v6 :: v_dual_fmac_f32 v100, v11, v48
	v_fmac_f32_e32 v92, v5, v58
	v_fmac_f32_e32 v98, v7, v54
	v_fma_f32 v5, v10, v48, -v99
	v_fma_f32 v7, v16, v44, -v105
	v_add_f32_e32 v97, v25, v100
	v_dual_fmac_f32 v96, v9, v52 :: v_dual_mul_f32 v107, v15, v47
	v_mul_f32_e32 v115, v33, v43
	v_fma_f32 v8, v12, v50, -v101
	v_dual_add_f32 v101, v26, v7 :: v_dual_mul_f32 v106, v16, v45
	v_mul_f32_e32 v110, v14, v47
	v_dual_mul_f32 v114, v34, v43 :: v_dual_add_f32 v89, v96, v98
	v_add_f32_e32 v91, v24, v5
	v_mul_f32_e32 v104, v12, v51
	v_fma_f32 v12, v14, v46, -v107
	s_delay_alu instid0(VALU_DEP_4)
	v_fma_f32 v14, v33, v42, -v114
	v_fmac_f32_e32 v115, v34, v42
	v_sub_f32_e32 v33, v96, v98
	v_dual_fmac_f32 v110, v15, v46 :: v_dual_add_f32 v119, v1, v113
	v_dual_add_f32 v15, v90, v92 :: v_dual_fmac_f32 v104, v13, v50
	v_add_f32_e32 v105, v7, v12
	v_dual_add_f32 v34, v23, v96 :: v_dual_fmac_f32 v23, -0.5, v89
	v_add_f32_e32 v93, v5, v8
	v_fmac_f32_e32 v106, v17, v44
	v_dual_add_f32 v13, v21, v90 :: v_dual_lshlrev_b32 v88, 4, v87
	v_fma_f32 v9, v18, v40, -v111
	v_dual_add_f32 v10, v20, v2 :: v_dual_add_f32 v11, v2, v3
	v_sub_f32_e32 v118, v113, v115
	v_dual_add_f32 v113, v113, v115 :: v_dual_sub_f32 v114, v7, v12
	v_add_f32_e32 v7, v34, v98
	v_sub_f32_e32 v107, v106, v110
	v_add_f32_e32 v99, v100, v104
	s_delay_alu instid0(VALU_DEP_4)
	v_fmac_f32_e32 v1, -0.5, v113
	v_sub_f32_e32 v17, v90, v92
	v_dual_sub_f32 v18, v2, v3 :: v_dual_add_f32 v111, v27, v106
	v_dual_add_f32 v16, v22, v4 :: v_dual_add_f32 v117, v9, v14
	v_sub_f32_e32 v90, v4, v6
	v_sub_f32_e32 v96, v100, v104
	v_add_f32_e32 v106, v106, v110
	v_add_f32_e32 v116, v0, v9
	;; [unrolled: 1-line block ×3, first 2 shown]
	v_fma_f32 v4, -0.5, v11, v20
	v_add_f32_e32 v3, v13, v92
	v_sub_f32_e32 v122, v9, v14
	v_add_f32_e32 v9, v97, v104
	v_dual_sub_f32 v100, v5, v8 :: v_dual_fmac_f32 v27, -0.5, v106
	v_fma_f32 v5, -0.5, v15, v21
	v_fma_f32 v22, -0.5, v19, v22
	;; [unrolled: 1-line block ×4, first 2 shown]
	v_add_f32_e32 v6, v16, v6
	v_fma_f32 v26, -0.5, v105, v26
	v_fma_f32 v0, -0.5, v117, v0
	v_fmamk_f32 v16, v17, 0x3f5db3d7, v4
	v_dual_fmac_f32 v4, 0xbf5db3d7, v17 :: v_dual_fmamk_f32 v17, v18, 0xbf5db3d7, v5
	v_fmac_f32_e32 v5, 0x3f5db3d7, v18
	v_fmamk_f32 v19, v90, 0xbf5db3d7, v23
	v_fmamk_f32 v18, v33, 0x3f5db3d7, v22
	v_dual_add_f32 v8, v91, v8 :: v_dual_fmac_f32 v23, 0x3f5db3d7, v90
	v_fmac_f32_e32 v22, 0xbf5db3d7, v33
	v_dual_add_f32 v12, v101, v12 :: v_dual_fmamk_f32 v21, v100, 0xbf5db3d7, v11
	v_add_f32_e32 v13, v111, v110
	v_dual_add_f32 v15, v119, v115 :: v_dual_add_f32 v14, v116, v14
	v_fmamk_f32 v25, v114, 0xbf5db3d7, v27
	v_fmamk_f32 v20, v96, 0x3f5db3d7, v10
	v_fmac_f32_e32 v10, 0xbf5db3d7, v96
	v_dual_fmac_f32 v11, 0x3f5db3d7, v100 :: v_dual_fmamk_f32 v24, v107, 0x3f5db3d7, v26
	v_fmac_f32_e32 v26, 0xbf5db3d7, v107
	v_fmac_f32_e32 v27, 0x3f5db3d7, v114
	v_fmamk_f32 v33, v118, 0x3f5db3d7, v0
	v_fmac_f32_e32 v0, 0xbf5db3d7, v118
	v_fmamk_f32 v34, v122, 0xbf5db3d7, v1
	v_fmac_f32_e32 v1, 0x3f5db3d7, v122
	ds_store_2addr_b64 v196, v[2:3], v[16:17] offset1:15
	ds_store_b64 v196, v[4:5] offset:240
	ds_store_2addr_b64 v198, v[6:7], v[18:19] offset1:15
	ds_store_b64 v198, v[22:23] offset:240
	;; [unrolled: 2-line block ×5, first 2 shown]
	global_wb scope:SCOPE_SE
	s_wait_dscnt 0x0
	s_barrier_signal -1
	s_barrier_wait -1
	global_inv scope:SCOPE_SE
	s_clause 0x1
	global_load_b128 v[16:19], v88, s[10:11] offset:320
	global_load_b128 v[12:15], v[28:29], off offset:320
	v_add_co_u32 v0, s2, s10, v83
	s_wait_alu 0xf1ff
	v_add_co_ci_u32_e64 v1, null, s11, 0, s2
	v_add_co_u32 v2, s2, s10, v84
	s_wait_alu 0xf1ff
	v_add_co_ci_u32_e64 v3, null, s11, 0, s2
	global_load_b128 v[8:11], v[0:1], off offset:320
	v_add_co_u32 v0, s2, s10, v85
	s_wait_alu 0xf1ff
	v_add_co_ci_u32_e64 v1, null, s11, 0, s2
	s_clause 0x1
	global_load_b128 v[4:7], v[2:3], off offset:320
	global_load_b128 v[0:3], v[0:1], off offset:320
	v_add_co_u32 v20, s2, 0xffffff79, v184
	v_mul_u32_u24_e32 v22, 0x795d, v31
	v_mul_u32_u24_e32 v23, 0x795d, v82
	;; [unrolled: 1-line block ×3, first 2 shown]
	s_wait_alu 0xfffd
	v_cndmask_b32_e32 v91, v20, v184, vcc_lo
	v_mul_u32_u24_e32 v20, 0x795d, v32
	v_lshrrev_b32_e32 v99, 22, v22
	v_lshrrev_b32_e32 v105, 22, v23
	;; [unrolled: 1-line block ×3, first 2 shown]
	s_wait_alu 0xf1ff
	v_add_co_ci_u32_e64 v21, null, 0, -1, s2
	v_lshrrev_b32_e32 v98, 22, v20
	v_mul_lo_u16 v23, 0x87, v99
	v_mul_lo_u16 v24, 0x87, v105
	;; [unrolled: 1-line block ×3, first 2 shown]
	v_cndmask_b32_e64 v92, v21, 0, vcc_lo
	v_mul_lo_u16 v22, 0x87, v98
	v_sub_nc_u16 v107, v109, v23
	v_sub_nc_u16 v113, v108, v24
	;; [unrolled: 1-line block ×3, first 2 shown]
	v_lshlrev_b64_e32 v[20:21], 4, v[91:92]
	v_sub_nc_u16 v104, v103, v22
	v_lshlrev_b16 v25, 4, v107
	v_lshlrev_b16 v26, 4, v113
	;; [unrolled: 1-line block ×3, first 2 shown]
	v_mad_u16 v22, 0x87, v36, v94
	v_lshlrev_b16 v24, 4, v104
	v_and_b32_e32 v100, 0xffff, v25
	v_and_b32_e32 v101, 0xffff, v26
	;; [unrolled: 1-line block ×3, first 2 shown]
	v_add_co_u32 v92, vcc_lo, s10, v20
	v_and_b32_e32 v33, 0xffff, v24
	ds_load_2addr_b64 v[24:27], v185 offset0:6 offset1:249
	s_wait_alu 0xfffd
	v_add_co_ci_u32_e32 v93, vcc_lo, s11, v21, vcc_lo
	v_mad_u16 v21, 0x87, v35, v86
	v_mad_u16 v20, 0x87, v30, v39
	v_and_b32_e32 v28, 0xffff, v37
	v_and_b32_e32 v30, 0xffff, v22
	v_mad_u16 v23, 0x87, v38, v95
	v_and_b32_e32 v29, 0xffff, v21
	v_cmp_gt_u16_e32 vcc_lo, 0xa2, v102
	v_mul_u32_u24_e32 v82, 0x43a3, v82
	v_lshlrev_b32_e32 v193, 3, v30
	v_and_b32_e32 v32, 0xffff, v23
	v_mul_u32_u24_e32 v81, 0x43a3, v81
	v_lshlrev_b32_e32 v109, 4, v109
	v_lshrrev_b32_e32 v82, 16, v82
	s_delay_alu instid0(VALU_DEP_4)
	v_lshlrev_b32_e32 v194, 3, v32
	s_wait_loadcnt_dscnt 0x400
	v_mul_f32_e32 v116, v25, v19
	s_wait_loadcnt 0x3
	v_dual_mul_f32 v123, v26, v15 :: v_dual_lshlrev_b32 v192, 3, v29
	v_mul_u32_u24_e32 v36, 0x87, v28
	ds_load_2addr_b64 v[28:31], v190 offset0:2 offset1:245
	v_dual_mul_f32 v117, v24, v19 :: v_dual_and_b32 v20, 0xffff, v20
	v_mul_f32_e32 v122, v27, v15
	v_add_lshl_u32 v195, v36, v87, 3
	v_fma_f32 v24, v24, v18, -v116
	v_fmac_f32_e32 v123, v27, v14
	v_fmac_f32_e32 v117, v25, v18
	v_fma_f32 v25, v26, v14, -v122
	s_wait_loadcnt_dscnt 0x200
	v_mul_f32_e32 v125, v30, v9
	v_lshlrev_b32_e32 v191, 3, v20
	ds_load_2addr_b64 v[20:23], v186 offset0:12 offset1:255
	v_mul_f32_e32 v118, v29, v13
	v_add_co_u32 v94, s2, s10, v33
	ds_load_2addr_b64 v[32:35], v187 offset0:4 offset1:247
	ds_load_2addr_b64 v[36:39], v188 offset0:8 offset1:251
	ds_load_2addr_b64 v[83:86], v183 offset1:243
	ds_load_2addr_b64 v[87:90], v189 offset0:6 offset1:249
	ds_load_b64 v[96:97], v183 offset:27216
	v_mul_f32_e32 v119, v28, v13
	v_mul_f32_e32 v124, v31, v9
	v_fma_f32 v26, v28, v12, -v118
	v_fmac_f32_e32 v125, v31, v8
	global_wb scope:SCOPE_SE
	s_wait_loadcnt_dscnt 0x0
	v_fmac_f32_e32 v119, v29, v12
	v_fma_f32 v27, v30, v8, -v124
	s_barrier_signal -1
	s_barrier_wait -1
	global_inv scope:SCOPE_SE
	s_wait_alu 0xf1ff
	v_add_co_ci_u32_e64 v95, null, s11, 0, s2
	v_mul_f32_e32 v111, v23, v17
	v_mul_f32_e32 v115, v22, v17
	;; [unrolled: 1-line block ×7, first 2 shown]
	v_dual_mul_f32 v134, v34, v7 :: v_dual_fmac_f32 v115, v23, v16
	v_mul_f32_e32 v135, v39, v1
	s_delay_alu instid0(VALU_DEP_4)
	v_dual_mul_f32 v136, v38, v1 :: v_dual_fmac_f32 v127, v33, v10
	v_mul_f32_e32 v137, v97, v3
	v_fma_f32 v22, v22, v16, -v111
	v_mul_f32_e32 v138, v96, v3
	v_fma_f32 v28, v32, v10, -v126
	v_fma_f32 v23, v36, v4, -v131
	v_dual_fmac_f32 v132, v37, v4 :: v_dual_sub_f32 v37, v115, v117
	v_fma_f32 v32, v34, v6, -v133
	v_dual_fmac_f32 v134, v35, v6 :: v_dual_add_f32 v33, v84, v115
	v_fma_f32 v29, v38, v0, -v135
	v_dual_fmac_f32 v136, v39, v0 :: v_dual_add_f32 v39, v26, v25
	v_fma_f32 v34, v96, v2, -v137
	v_dual_add_f32 v31, v22, v24 :: v_dual_fmac_f32 v138, v97, v2
	v_dual_add_f32 v35, v115, v117 :: v_dual_add_f32 v36, v85, v26
	v_dual_sub_f32 v115, v26, v25 :: v_dual_add_f32 v26, v87, v27
	v_sub_f32_e32 v131, v132, v134
	v_dual_add_f32 v30, v83, v22 :: v_dual_add_f32 v97, v86, v119
	v_dual_sub_f32 v38, v22, v24 :: v_dual_add_f32 v111, v119, v123
	v_add_f32_e32 v116, v27, v28
	v_dual_add_f32 v122, v125, v127 :: v_dual_sub_f32 v135, v23, v32
	v_dual_sub_f32 v96, v119, v123 :: v_dual_add_f32 v119, v88, v125
	v_dual_sub_f32 v118, v125, v127 :: v_dual_add_f32 v133, v90, v132
	;; [unrolled: 1-line block ×3, first 2 shown]
	v_dual_add_f32 v125, v89, v23 :: v_dual_add_f32 v126, v23, v32
	v_add_f32_e32 v139, v29, v34
	v_dual_add_f32 v132, v132, v134 :: v_dual_add_f32 v141, v21, v136
	v_dual_sub_f32 v140, v136, v138 :: v_dual_add_f32 v23, v33, v117
	v_add_f32_e32 v136, v136, v138
	v_dual_sub_f32 v142, v29, v34 :: v_dual_add_f32 v27, v119, v127
	v_fma_f32 v29, -0.5, v35, v84
	v_add_f32_e32 v26, v26, v28
	v_fma_f32 v28, -0.5, v31, v83
	v_dual_add_f32 v22, v30, v24 :: v_dual_add_f32 v33, v133, v134
	v_dual_add_f32 v24, v36, v25 :: v_dual_add_f32 v35, v141, v138
	v_add_f32_e32 v25, v97, v123
	v_fma_f32 v85, -0.5, v39, v85
	v_dual_fmac_f32 v86, -0.5, v111 :: v_dual_fmac_f32 v21, -0.5, v136
	v_fma_f32 v30, -0.5, v116, v87
	v_fma_f32 v31, -0.5, v122, v88
	v_add_f32_e32 v32, v125, v32
	v_fma_f32 v89, -0.5, v126, v89
	v_fmac_f32_e32 v90, -0.5, v132
	v_fma_f32 v20, -0.5, v139, v20
	v_fmamk_f32 v36, v37, 0x3f5db3d7, v28
	v_dual_fmac_f32 v28, 0xbf5db3d7, v37 :: v_dual_fmamk_f32 v37, v38, 0xbf5db3d7, v29
	v_fmac_f32_e32 v29, 0x3f5db3d7, v38
	v_dual_fmamk_f32 v38, v96, 0x3f5db3d7, v85 :: v_dual_fmamk_f32 v83, v118, 0x3f5db3d7, v30
	v_dual_fmamk_f32 v39, v115, 0xbf5db3d7, v86 :: v_dual_fmamk_f32 v84, v124, 0xbf5db3d7, v31
	v_dual_add_f32 v34, v137, v34 :: v_dual_fmac_f32 v85, 0xbf5db3d7, v96
	v_fmac_f32_e32 v86, 0x3f5db3d7, v115
	v_dual_fmac_f32 v30, 0xbf5db3d7, v118 :: v_dual_fmamk_f32 v97, v142, 0xbf5db3d7, v21
	v_fmac_f32_e32 v31, 0x3f5db3d7, v124
	v_fmamk_f32 v87, v131, 0x3f5db3d7, v89
	v_dual_fmac_f32 v89, 0xbf5db3d7, v131 :: v_dual_fmamk_f32 v88, v135, 0xbf5db3d7, v90
	v_fmac_f32_e32 v90, 0x3f5db3d7, v135
	v_fmamk_f32 v96, v140, 0x3f5db3d7, v20
	v_fmac_f32_e32 v20, 0xbf5db3d7, v140
	v_fmac_f32_e32 v21, 0x3f5db3d7, v142
	ds_store_2addr_b64 v195, v[22:23], v[36:37] offset1:45
	ds_store_b64 v195, v[28:29] offset:720
	ds_store_2addr_b64 v191, v[24:25], v[38:39] offset1:45
	ds_store_b64 v191, v[85:86] offset:720
	;; [unrolled: 2-line block ×5, first 2 shown]
	global_wb scope:SCOPE_SE
	s_wait_dscnt 0x0
	s_barrier_signal -1
	s_barrier_wait -1
	global_inv scope:SCOPE_SE
	global_load_b128 v[36:39], v[92:93], off offset:1040
	v_add_co_u32 v20, s2, s10, v100
	s_wait_alu 0xf1ff
	v_add_co_ci_u32_e64 v21, null, s11, 0, s2
	v_add_co_u32 v22, s2, s10, v101
	s_wait_alu 0xf1ff
	v_add_co_ci_u32_e64 v23, null, s11, 0, s2
	global_load_b128 v[28:31], v[20:21], off offset:1040
	v_add_co_u32 v20, s2, s10, v110
	global_load_b128 v[32:35], v[94:95], off offset:1040
	s_wait_alu 0xf1ff
	v_add_co_ci_u32_e64 v21, null, s11, 0, s2
	s_clause 0x1
	global_load_b128 v[24:27], v[22:23], off offset:1040
	global_load_b128 v[20:23], v[20:21], off offset:1040
	v_add_co_u32 v83, s2, 0xffffff5e, v184
	v_lshrrev_b32_e32 v85, 16, v81
	s_wait_alu 0xf1ff
	v_add_co_ci_u32_e64 v84, null, 0, -1, s2
	s_wait_alu 0xfffd
	v_cndmask_b32_e32 v100, v83, v103, vcc_lo
	v_sub_nc_u16 v81, v108, v82
	v_sub_nc_u16 v83, v112, v85
	v_cndmask_b32_e32 v101, v84, v80, vcc_lo
	v_cmp_lt_u16_e32 vcc_lo, 0x86, v102
	s_delay_alu instid0(VALU_DEP_4) | instskip(NEXT) | instid1(VALU_DEP_4)
	v_lshrrev_b16 v86, 1, v81
	v_lshrrev_b16 v83, 1, v83
	s_delay_alu instid0(VALU_DEP_4)
	v_lshlrev_b64_e32 v[80:81], 4, v[100:101]
	s_wait_alu 0xfffd
	v_cndmask_b32_e64 v84, 0, 0x195, vcc_lo
	v_lshlrev_b32_e32 v101, 4, v184
	v_add_nc_u16 v82, v86, v82
	v_add_nc_u16 v83, v83, v85
	v_add_co_u32 v110, vcc_lo, s10, v80
	v_mad_u16 v80, 0x195, v98, v104
	s_delay_alu instid0(VALU_DEP_4) | instskip(NEXT) | instid1(VALU_DEP_4)
	v_lshrrev_b16 v104, 8, v82
	v_lshrrev_b16 v82, 8, v83
	v_add_lshl_u32 v202, v91, v84, 3
	s_wait_alu 0xfffd
	v_add_co_ci_u32_e32 v111, vcc_lo, s11, v81, vcc_lo
	v_and_b32_e32 v85, 0xffff, v80
	v_mad_u16 v81, 0x195, v99, v107
	v_mad_u16 v83, 0x195, v105, v113
	v_mad_u16 v84, 0x195, v106, v114
	v_mul_lo_u16 v80, 0x195, v104
	v_mul_lo_u16 v82, 0x195, v82
	v_lshlrev_b32_e32 v207, 3, v85
	v_and_b32_e32 v92, 0xffff, v83
	v_and_b32_e32 v93, 0xffff, v84
	v_sub_nc_u16 v105, v108, v80
	v_sub_nc_u16 v106, v112, v82
	ds_load_2addr_b64 v[84:87], v185 offset0:6 offset1:249
	v_and_b32_e32 v88, 0xffff, v81
	ds_load_2addr_b64 v[80:83], v186 offset0:12 offset1:255
	v_lshlrev_b16 v94, 4, v105
	v_lshlrev_b16 v96, 4, v106
	v_cmp_lt_u16_e32 vcc_lo, 0xa1, v102
	s_delay_alu instid0(VALU_DEP_3) | instskip(NEXT) | instid1(VALU_DEP_3)
	v_and_b32_e32 v107, 0xffff, v94
	v_and_b32_e32 v119, 0xffff, v96
	s_wait_alu 0xfffd
	v_cndmask_b32_e64 v102, 0, 0x4bf, vcc_lo
	s_delay_alu instid0(VALU_DEP_1)
	v_add_lshl_u32 v213, v100, v102, 3
	s_wait_loadcnt_dscnt 0x400
	v_mul_f32_e32 v126, v83, v37
	v_lshlrev_b32_e32 v209, 3, v93
	v_mul_f32_e32 v127, v82, v37
	v_dual_mul_f32 v131, v85, v39 :: v_dual_lshlrev_b32 v208, 3, v88
	ds_load_2addr_b64 v[88:91], v190 offset0:2 offset1:245
	v_lshlrev_b32_e32 v210, 3, v92
	ds_load_2addr_b64 v[92:95], v187 offset0:4 offset1:247
	ds_load_2addr_b64 v[96:99], v183 offset1:243
	ds_load_2addr_b64 v[113:116], v188 offset0:8 offset1:251
	ds_load_b64 v[117:118], v183 offset:27216
	ds_load_2addr_b64 v[122:125], v189 offset0:6 offset1:249
	v_mul_f32_e32 v132, v84, v39
	v_fma_f32 v84, v84, v38, -v131
	v_fma_f32 v82, v82, v36, -v126
	s_wait_loadcnt 0x2
	v_mul_f32_e32 v134, v86, v35
	v_dual_mul_f32 v133, v87, v35 :: v_dual_fmac_f32 v132, v85, v38
	v_fmac_f32_e32 v127, v83, v36
	global_wb scope:SCOPE_SE
	s_wait_loadcnt_dscnt 0x0
	v_fmac_f32_e32 v134, v87, v34
	v_fma_f32 v86, v86, v34, -v133
	s_barrier_signal -1
	s_barrier_wait -1
	global_inv scope:SCOPE_SE
	v_mul_f32_e32 v135, v89, v33
	v_dual_mul_f32 v136, v88, v33 :: v_dual_mul_f32 v139, v93, v31
	v_dual_mul_f32 v137, v91, v29 :: v_dual_mul_f32 v140, v92, v31
	;; [unrolled: 1-line block ×4, first 2 shown]
	v_mul_f32_e32 v143, v114, v25
	v_dual_mul_f32 v144, v113, v25 :: v_dual_mul_f32 v147, v118, v23
	v_dual_mul_f32 v146, v115, v21 :: v_dual_mul_f32 v179, v117, v23
	v_fma_f32 v85, v88, v32, -v135
	v_fmac_f32_e32 v136, v89, v32
	v_fma_f32 v87, v90, v28, -v137
	v_fmac_f32_e32 v140, v93, v30
	v_dual_fmac_f32 v138, v91, v28 :: v_dual_add_f32 v91, v96, v82
	v_fma_f32 v88, v92, v30, -v139
	v_fma_f32 v90, v94, v26, -v141
	v_dual_fmac_f32 v142, v95, v26 :: v_dual_add_f32 v95, v97, v127
	v_fma_f32 v83, v113, v24, -v143
	v_fma_f32 v89, v115, v20, -v145
	v_fmac_f32_e32 v146, v116, v20
	v_fma_f32 v92, v117, v22, -v147
	v_fmac_f32_e32 v179, v118, v22
	v_add_f32_e32 v93, v82, v84
	v_dual_fmac_f32 v144, v114, v24 :: v_dual_add_f32 v117, v136, v134
	v_add_f32_e32 v94, v127, v132
	v_dual_sub_f32 v113, v127, v132 :: v_dual_sub_f32 v116, v136, v134
	v_dual_add_f32 v115, v99, v136 :: v_dual_add_f32 v118, v98, v85
	v_dual_add_f32 v136, v122, v87 :: v_dual_add_f32 v137, v87, v88
	v_dual_add_f32 v126, v85, v86 :: v_dual_sub_f32 v133, v138, v140
	v_add_f32_e32 v135, v138, v140
	v_dual_sub_f32 v114, v82, v84 :: v_dual_add_f32 v131, v123, v138
	v_dual_sub_f32 v127, v85, v86 :: v_dual_sub_f32 v138, v87, v88
	v_add_f32_e32 v143, v144, v142
	v_add_f32_e32 v139, v125, v144
	v_sub_f32_e32 v141, v144, v142
	v_dual_add_f32 v145, v83, v90 :: v_dual_add_f32 v182, v80, v89
	v_dual_sub_f32 v147, v83, v90 :: v_dual_sub_f32 v212, v89, v92
	v_dual_add_f32 v180, v81, v146 :: v_dual_sub_f32 v181, v146, v179
	v_dual_add_f32 v146, v146, v179 :: v_dual_add_f32 v211, v89, v92
	v_add_f32_e32 v82, v91, v84
	v_add_f32_e32 v85, v115, v134
	;; [unrolled: 1-line block ×4, first 2 shown]
	v_fma_f32 v88, -0.5, v93, v96
	v_fma_f32 v89, -0.5, v94, v97
	;; [unrolled: 1-line block ×3, first 2 shown]
	v_dual_fmac_f32 v99, -0.5, v117 :: v_dual_add_f32 v144, v124, v83
	v_add_f32_e32 v83, v95, v132
	v_fma_f32 v94, -0.5, v137, v122
	v_fma_f32 v95, -0.5, v135, v123
	v_dual_add_f32 v87, v131, v140 :: v_dual_fmamk_f32 v96, v113, 0x3f5db3d7, v88
	v_fma_f32 v124, -0.5, v145, v124
	v_dual_fmac_f32 v125, -0.5, v143 :: v_dual_fmac_f32 v88, 0xbf5db3d7, v113
	v_fma_f32 v80, -0.5, v211, v80
	v_fmac_f32_e32 v81, -0.5, v146
	v_fmamk_f32 v97, v114, 0xbf5db3d7, v89
	v_fmac_f32_e32 v89, 0x3f5db3d7, v114
	v_fmamk_f32 v113, v116, 0x3f5db3d7, v98
	v_fmac_f32_e32 v98, 0xbf5db3d7, v116
	;; [unrolled: 2-line block ×3, first 2 shown]
	v_fmamk_f32 v115, v133, 0x3f5db3d7, v94
	v_dual_fmamk_f32 v116, v138, 0xbf5db3d7, v95 :: v_dual_add_f32 v91, v139, v142
	v_add_f32_e32 v92, v182, v92
	v_add_f32_e32 v90, v144, v90
	v_dual_add_f32 v93, v180, v179 :: v_dual_fmac_f32 v94, 0xbf5db3d7, v133
	v_fmac_f32_e32 v95, 0x3f5db3d7, v138
	v_fmamk_f32 v117, v141, 0x3f5db3d7, v124
	v_fmac_f32_e32 v124, 0xbf5db3d7, v141
	v_fmamk_f32 v118, v147, 0xbf5db3d7, v125
	v_dual_fmac_f32 v125, 0x3f5db3d7, v147 :: v_dual_fmamk_f32 v122, v181, 0x3f5db3d7, v80
	v_dual_fmac_f32 v80, 0xbf5db3d7, v181 :: v_dual_fmamk_f32 v123, v212, 0xbf5db3d7, v81
	v_fmac_f32_e32 v81, 0x3f5db3d7, v212
	ds_store_2addr_b64 v202, v[82:83], v[96:97] offset1:135
	ds_store_b64 v202, v[88:89] offset:2160
	ds_store_2addr_b64 v207, v[84:85], v[113:114] offset1:135
	ds_store_b64 v207, v[98:99] offset:2160
	;; [unrolled: 2-line block ×5, first 2 shown]
	v_add_co_u32 v84, s2, s10, v107
	s_wait_alu 0xf1ff
	v_add_co_ci_u32_e64 v85, null, s11, 0, s2
	v_add_co_u32 v96, s2, s10, v119
	s_wait_alu 0xf1ff
	v_add_co_ci_u32_e64 v97, null, s11, 0, s2
	global_wb scope:SCOPE_SE
	s_wait_dscnt 0x0
	s_barrier_signal -1
	s_barrier_wait -1
	global_inv scope:SCOPE_SE
	s_clause 0x4
	global_load_b128 v[92:95], v101, s[10:11] offset:3200
	global_load_b128 v[88:91], v[110:111], off offset:3200
	global_load_b128 v[80:83], v101, s[10:11] offset:4496
	global_load_b128 v[84:87], v[84:85], off offset:3200
	global_load_b128 v[96:99], v[96:97], off offset:3200
	v_mad_u16 v110, 0x4bf, v104, v105
	ds_load_2addr_b64 v[122:125], v187 offset0:4 offset1:247
	v_and_b32_e32 v111, 0xffff, v106
	ds_load_2addr_b64 v[104:107], v190 offset0:2 offset1:245
	ds_load_2addr_b64 v[113:116], v185 offset0:6 offset1:249
	v_lshlrev_b32_e32 v119, 4, v103
	ds_load_2addr_b64 v[131:134], v188 offset0:8 offset1:251
	ds_load_2addr_b64 v[135:138], v186 offset0:12 offset1:255
	ds_load_2addr_b64 v[139:142], v183 offset1:243
	ds_load_b64 v[102:103], v183 offset:27216
	ds_load_2addr_b64 v[143:146], v189 offset0:6 offset1:249
	v_and_b32_e32 v110, 0xffff, v110
	global_wb scope:SCOPE_SE
	s_wait_loadcnt_dscnt 0x0
	s_barrier_signal -1
	s_barrier_wait -1
	global_inv scope:SCOPE_SE
	s_add_nc_u64 s[2:3], s[8:9], 0x71e8
	v_mul_f32_e32 v218, v137, v93
	v_mul_f32_e32 v100, v114, v95
	v_dual_mul_f32 v147, v106, v81 :: v_dual_mul_f32 v220, v103, v99
	v_mul_f32_e32 v180, v122, v83
	v_dual_mul_f32 v117, v115, v91 :: v_dual_lshlrev_b32 v212, 3, v110
	v_mul_f32_e32 v110, v113, v95
	v_dual_mul_f32 v182, v124, v87 :: v_dual_mul_f32 v219, v138, v93
	v_lshlrev_b32_e32 v211, 3, v111
	v_dual_mul_f32 v111, v116, v91 :: v_dual_mul_f32 v118, v105, v89
	s_delay_alu instid0(VALU_DEP_3)
	v_fmac_f32_e32 v182, v125, v86
	v_dual_mul_f32 v126, v104, v89 :: v_dual_mul_f32 v221, v102, v99
	v_dual_mul_f32 v217, v133, v97 :: v_dual_fmac_f32 v218, v138, v92
	v_dual_mul_f32 v127, v107, v81 :: v_dual_fmac_f32 v110, v114, v94
	v_dual_mul_f32 v179, v123, v83 :: v_dual_mul_f32 v216, v134, v97
	v_dual_mul_f32 v181, v125, v87 :: v_dual_fmac_f32 v180, v123, v82
	v_mul_f32_e32 v214, v132, v85
	v_dual_mul_f32 v215, v131, v85 :: v_dual_fmac_f32 v126, v105, v88
	v_fmac_f32_e32 v147, v107, v80
	v_fma_f32 v100, v113, v94, -v100
	v_fma_f32 v114, v137, v92, -v219
	;; [unrolled: 1-line block ×5, first 2 shown]
	v_add_f32_e32 v102, v140, v218
	v_dual_fmac_f32 v117, v116, v90 :: v_dual_add_f32 v138, v147, v180
	v_fma_f32 v105, v106, v80, -v127
	v_fma_f32 v113, v122, v82, -v179
	;; [unrolled: 1-line block ×4, first 2 shown]
	v_dual_fmac_f32 v215, v132, v84 :: v_dual_add_f32 v116, v139, v114
	v_fma_f32 v107, v133, v96, -v216
	v_dual_fmac_f32 v217, v134, v96 :: v_dual_add_f32 v132, v104, v111
	v_fmac_f32_e32 v221, v103, v98
	v_dual_add_f32 v122, v218, v110 :: v_dual_sub_f32 v133, v104, v111
	v_dual_add_f32 v123, v114, v100 :: v_dual_add_f32 v134, v144, v147
	v_dual_sub_f32 v125, v114, v100 :: v_dual_sub_f32 v216, v215, v182
	v_dual_add_f32 v114, v142, v126 :: v_dual_sub_f32 v137, v147, v180
	v_add_f32_e32 v127, v126, v117
	v_dual_sub_f32 v124, v218, v110 :: v_dual_add_f32 v131, v141, v104
	v_sub_f32_e32 v126, v126, v117
	v_dual_add_f32 v147, v143, v105 :: v_dual_add_f32 v214, v146, v215
	v_dual_add_f32 v179, v105, v113 :: v_dual_sub_f32 v220, v106, v115
	v_dual_sub_f32 v181, v105, v113 :: v_dual_add_f32 v224, v135, v107
	v_dual_add_f32 v215, v215, v182 :: v_dual_add_f32 v222, v136, v217
	v_dual_add_f32 v218, v145, v106 :: v_dual_add_f32 v219, v106, v115
	v_dual_sub_f32 v226, v107, v118 :: v_dual_sub_f32 v223, v217, v221
	v_dual_add_f32 v217, v217, v221 :: v_dual_add_f32 v106, v131, v111
	v_add_f32_e32 v225, v107, v118
	v_fma_f32 v104, -0.5, v123, v139
	v_fma_f32 v105, -0.5, v122, v140
	v_dual_add_f32 v107, v114, v117 :: v_dual_fmac_f32 v142, -0.5, v127
	v_fma_f32 v141, -0.5, v132, v141
	v_dual_add_f32 v103, v102, v110 :: v_dual_add_f32 v110, v147, v113
	v_add_f32_e32 v102, v116, v100
	v_dual_add_f32 v111, v134, v180 :: v_dual_fmac_f32 v146, -0.5, v215
	v_dual_add_f32 v113, v218, v115 :: v_dual_fmac_f32 v136, -0.5, v217
	v_dual_add_f32 v116, v222, v221 :: v_dual_add_f32 v115, v224, v118
	v_fma_f32 v117, -0.5, v179, v143
	v_fma_f32 v118, -0.5, v138, v144
	;; [unrolled: 1-line block ×4, first 2 shown]
	v_dual_add_f32 v114, v214, v182 :: v_dual_fmamk_f32 v123, v125, 0xbf5db3d7, v105
	v_dual_fmamk_f32 v122, v124, 0x3f5db3d7, v104 :: v_dual_fmac_f32 v105, 0x3f5db3d7, v125
	v_fmac_f32_e32 v104, 0xbf5db3d7, v124
	v_fmamk_f32 v124, v126, 0x3f5db3d7, v141
	v_dual_fmac_f32 v141, 0xbf5db3d7, v126 :: v_dual_fmamk_f32 v132, v220, 0xbf5db3d7, v146
	v_fmamk_f32 v125, v133, 0xbf5db3d7, v142
	v_dual_fmac_f32 v142, 0x3f5db3d7, v133 :: v_dual_fmamk_f32 v131, v216, 0x3f5db3d7, v145
	;; [unrolled: 2-line block ×4, first 2 shown]
	v_fmac_f32_e32 v145, 0xbf5db3d7, v216
	v_fmac_f32_e32 v146, 0x3f5db3d7, v220
	;; [unrolled: 1-line block ×4, first 2 shown]
	ds_store_b64 v183, v[102:103]
	ds_store_b64 v183, v[122:123] offset:3240
	ds_store_b64 v183, v[104:105] offset:6480
	ds_store_b64 v213, v[106:107]
	ds_store_b64 v213, v[141:142] offset:6480
	ds_store_b64 v213, v[124:125] offset:3240
	;; [unrolled: 1-line block ×5, first 2 shown]
	ds_store_b64 v212, v[113:114]
	ds_store_b64 v212, v[131:132] offset:3240
	ds_store_b64 v212, v[145:146] offset:6480
	;; [unrolled: 1-line block ×5, first 2 shown]
	global_wb scope:SCOPE_SE
	s_wait_dscnt 0x0
	s_barrier_signal -1
	s_barrier_wait -1
	global_inv scope:SCOPE_SE
	s_clause 0x1
	global_load_b128 v[104:107], v101, s[10:11] offset:9680
	global_load_b128 v[100:103], v119, s[10:11] offset:9680
	v_lshlrev_b32_e32 v113, 4, v108
	v_lshlrev_b32_e32 v116, 4, v112
	s_clause 0x2
	global_load_b128 v[108:111], v109, s[10:11] offset:9680
	global_load_b128 v[112:115], v113, s[10:11] offset:9680
	;; [unrolled: 1-line block ×3, first 2 shown]
	ds_load_2addr_b64 v[122:125], v185 offset0:6 offset1:249
	ds_load_2addr_b64 v[131:134], v190 offset0:2 offset1:245
	;; [unrolled: 1-line block ×5, first 2 shown]
	ds_load_2addr_b64 v[179:182], v183 offset1:243
	ds_load_2addr_b64 v[215:218], v189 offset0:6 offset1:249
	ds_load_b64 v[126:127], v183 offset:27216
	v_add_nc_u32_e32 v214, 0x5380, v183
	s_wait_loadcnt_dscnt 0x407
	v_mul_f32_e32 v147, v123, v107
	s_wait_loadcnt_dscnt 0x306
	v_mul_f32_e32 v223, v131, v101
	v_mul_f32_e32 v219, v122, v107
	;; [unrolled: 1-line block ×3, first 2 shown]
	s_wait_loadcnt 0x2
	v_dual_mul_f32 v221, v124, v103 :: v_dual_mul_f32 v226, v134, v109
	v_mul_f32_e32 v222, v132, v101
	s_wait_dscnt 0x4
	v_dual_mul_f32 v225, v138, v105 :: v_dual_mul_f32 v228, v140, v111
	v_mul_f32_e32 v224, v137, v105
	s_wait_loadcnt 0x1
	v_dual_mul_f32 v227, v133, v109 :: v_dual_mul_f32 v230, v142, v115
	s_wait_dscnt 0x3
	v_dual_mul_f32 v229, v139, v111 :: v_dual_mul_f32 v232, v144, v113
	v_mul_f32_e32 v233, v143, v113
	v_fma_f32 v122, v122, v106, -v147
	v_dual_fmac_f32 v219, v123, v106 :: v_dual_fmac_f32 v224, v138, v104
	v_fma_f32 v124, v124, v102, -v220
	s_wait_loadcnt_dscnt 0x0
	v_dual_fmac_f32 v221, v125, v102 :: v_dual_mul_f32 v220, v126, v119
	v_mul_f32_e32 v147, v145, v117
	v_fma_f32 v125, v131, v100, -v222
	v_mul_f32_e32 v123, v127, v119
	v_fma_f32 v131, v137, v104, -v225
	v_dual_mul_f32 v231, v141, v115 :: v_dual_mul_f32 v234, v146, v117
	v_fmac_f32_e32 v223, v132, v100
	v_fma_f32 v132, v133, v108, -v226
	v_fmac_f32_e32 v227, v134, v108
	v_fma_f32 v133, v139, v110, -v228
	v_dual_fmac_f32 v220, v127, v118 :: v_dual_fmac_f32 v147, v146, v116
	v_add_f32_e32 v146, v125, v124
	v_fma_f32 v139, v126, v118, -v123
	s_delay_alu instid0(VALU_DEP_4)
	v_sub_f32_e32 v226, v132, v133
	v_add_f32_e32 v126, v131, v122
	v_dual_fmac_f32 v229, v140, v110 :: v_dual_add_f32 v140, v179, v131
	v_dual_add_f32 v127, v224, v219 :: v_dual_add_f32 v228, v215, v132
	v_fma_f32 v137, v141, v114, -v230
	v_dual_fmac_f32 v231, v142, v114 :: v_dual_sub_f32 v222, v125, v124
	v_fma_f32 v134, v143, v112, -v232
	v_fma_f32 v138, v145, v116, -v234
	v_dual_add_f32 v123, v180, v224 :: v_dual_add_f32 v142, v223, v221
	v_fmac_f32_e32 v233, v144, v112
	v_dual_sub_f32 v143, v224, v219 :: v_dual_sub_f32 v144, v131, v122
	v_dual_add_f32 v131, v181, v125 :: v_dual_add_f32 v122, v140, v122
	v_dual_add_f32 v141, v182, v223 :: v_dual_add_f32 v224, v227, v229
	v_dual_sub_f32 v225, v227, v229 :: v_dual_sub_f32 v236, v138, v139
	v_dual_add_f32 v227, v216, v227 :: v_dual_add_f32 v140, v134, v137
	v_dual_sub_f32 v145, v223, v221 :: v_dual_sub_f32 v234, v233, v231
	v_add_f32_e32 v223, v132, v133
	v_fma_f32 v127, -0.5, v127, v180
	v_add_f32_e32 v230, v217, v134
	v_dual_add_f32 v232, v218, v233 :: v_dual_add_f32 v233, v233, v231
	v_dual_fmac_f32 v182, -0.5, v142 :: v_dual_add_f32 v123, v123, v219
	v_sub_f32_e32 v219, v134, v137
	v_dual_add_f32 v235, v136, v147 :: v_dual_add_f32 v134, v227, v229
	v_dual_add_f32 v124, v131, v124 :: v_dual_add_f32 v125, v141, v221
	v_dual_add_f32 v141, v147, v220 :: v_dual_fmamk_f32 v142, v144, 0xbf5db3d7, v127
	v_fma_f32 v126, -0.5, v126, v179
	v_fma_f32 v181, -0.5, v146, v181
	v_dual_add_f32 v146, v138, v139 :: v_dual_sub_f32 v221, v147, v220
	s_delay_alu instid0(VALU_DEP_4)
	v_dual_fmac_f32 v136, -0.5, v141 :: v_dual_add_f32 v147, v135, v138
	v_fma_f32 v131, -0.5, v223, v215
	v_fma_f32 v132, -0.5, v224, v216
	;; [unrolled: 1-line block ×3, first 2 shown]
	v_fmac_f32_e32 v218, -0.5, v233
	v_fma_f32 v135, -0.5, v146, v135
	v_fmamk_f32 v141, v143, 0x3f5db3d7, v126
	v_fmac_f32_e32 v126, 0xbf5db3d7, v143
	v_fmac_f32_e32 v127, 0x3f5db3d7, v144
	v_dual_add_f32 v133, v228, v133 :: v_dual_fmamk_f32 v144, v222, 0xbf5db3d7, v182
	v_dual_add_f32 v137, v230, v137 :: v_dual_fmac_f32 v182, 0x3f5db3d7, v222
	v_add_f32_e32 v138, v232, v231
	v_dual_add_f32 v139, v147, v139 :: v_dual_fmamk_f32 v146, v226, 0xbf5db3d7, v132
	v_fmamk_f32 v143, v145, 0x3f5db3d7, v181
	v_dual_fmac_f32 v181, 0xbf5db3d7, v145 :: v_dual_fmamk_f32 v180, v219, 0xbf5db3d7, v218
	v_fmamk_f32 v145, v225, 0x3f5db3d7, v131
	v_dual_fmac_f32 v131, 0xbf5db3d7, v225 :: v_dual_fmamk_f32 v216, v236, 0xbf5db3d7, v136
	v_fmac_f32_e32 v132, 0x3f5db3d7, v226
	v_dual_add_f32 v140, v235, v220 :: v_dual_fmamk_f32 v179, v234, 0x3f5db3d7, v217
	v_fmac_f32_e32 v217, 0xbf5db3d7, v234
	v_dual_fmac_f32 v218, 0x3f5db3d7, v219 :: v_dual_fmamk_f32 v215, v221, 0x3f5db3d7, v135
	v_fmac_f32_e32 v135, 0xbf5db3d7, v221
	v_fmac_f32_e32 v136, 0x3f5db3d7, v236
	ds_store_b64 v183, v[141:142] offset:9720
	ds_store_b64 v183, v[126:127] offset:19440
	ds_store_2addr_b64 v183, v[122:123], v[124:125] offset1:243
	ds_store_2addr_b64 v214, v[181:182], v[131:132] offset0:1 offset1:244
	ds_store_2addr_b64 v190, v[143:144], v[145:146] offset0:2 offset1:245
	;; [unrolled: 1-line block ×3, first 2 shown]
	ds_store_b64 v183, v[217:218] offset:25272
	ds_store_b64 v183, v[139:140] offset:7776
	ds_store_2addr_b64 v188, v[179:180], v[215:216] offset0:8 offset1:251
	ds_store_b64 v183, v[135:136] offset:27216
	global_wb scope:SCOPE_SE
	s_wait_dscnt 0x0
	s_barrier_signal -1
	s_barrier_wait -1
	global_inv scope:SCOPE_SE
	s_clause 0xe
	global_load_b64 v[126:127], v183, s[8:9] offset:29160
	global_load_b64 v[139:140], v183, s[2:3] offset:1944
	;; [unrolled: 1-line block ×15, first 2 shown]
	ds_load_2addr_b64 v[122:125], v183 offset1:243
	s_load_b64 s[2:3], s[0:1], 0x38
	s_mul_u64 s[0:1], s[4:5], 0x16c8
	s_wait_loadcnt_dscnt 0xd00
	v_mul_f32_e32 v232, v124, v140
	s_delay_alu instid0(VALU_DEP_1) | instskip(SKIP_2) | instid1(VALU_DEP_2)
	v_fmac_f32_e32 v232, v125, v139
	v_mul_f32_e32 v131, v123, v127
	v_mul_f32_e32 v132, v122, v127
	v_fma_f32 v131, v122, v126, -v131
	s_delay_alu instid0(VALU_DEP_2)
	v_fmac_f32_e32 v132, v123, v126
	v_mul_f32_e32 v122, v125, v140
	ds_store_b64 v183, v[131:132]
	ds_load_2addr_b64 v[131:134], v190 offset0:2 offset1:245
	ds_load_2addr_b64 v[135:138], v187 offset0:4 offset1:247
	ds_load_b64 v[126:127], v183 offset:27216
	v_fma_f32 v231, v124, v139, -v122
	ds_load_2addr_b64 v[122:125], v189 offset0:6 offset1:249
	s_wait_loadcnt_dscnt 0xc03
	v_mul_f32_e32 v139, v132, v142
	s_wait_loadcnt 0xb
	v_dual_mul_f32 v140, v131, v142 :: v_dual_mul_f32 v147, v134, v144
	v_mul_f32_e32 v142, v133, v144
	s_wait_loadcnt_dscnt 0xa02
	v_mul_f32_e32 v144, v135, v146
	s_wait_loadcnt_dscnt 0x800
	v_dual_mul_f32 v233, v125, v182 :: v_dual_fmac_f32 v140, v132, v141
	v_fmac_f32_e32 v142, v134, v143
	v_fma_f32 v139, v131, v141, -v139
	v_dual_mul_f32 v131, v136, v146 :: v_dual_mul_f32 v146, v137, v180
	v_fma_f32 v141, v133, v143, -v147
	v_dual_mul_f32 v147, v138, v180 :: v_dual_fmac_f32 v144, v136, v145
	s_delay_alu instid0(VALU_DEP_3)
	v_fma_f32 v143, v135, v145, -v131
	ds_load_2addr_b64 v[131:134], v186 offset0:12 offset1:255
	v_fmac_f32_e32 v146, v138, v179
	v_fma_f32 v145, v137, v179, -v147
	s_wait_loadcnt 0x7
	v_dual_mul_f32 v147, v123, v216 :: v_dual_mul_f32 v180, v124, v182
	v_mul_f32_e32 v182, v122, v216
	s_wait_loadcnt 0x6
	v_mul_f32_e32 v216, v126, v218
	ds_load_2addr_b64 v[135:138], v188 offset0:8 offset1:251
	v_fma_f32 v179, v124, v181, -v233
	v_mul_f32_e32 v233, v127, v218
	v_fmac_f32_e32 v182, v123, v215
	v_fmac_f32_e32 v216, v127, v217
	s_wait_loadcnt_dscnt 0x501
	v_dual_mul_f32 v127, v131, v220 :: v_dual_fmac_f32 v180, v125, v181
	v_fma_f32 v181, v122, v215, -v147
	ds_load_2addr_b64 v[122:125], v185 offset0:6 offset1:249
	v_fma_f32 v215, v126, v217, -v233
	v_dual_mul_f32 v126, v132, v220 :: v_dual_add_nc_u32 v233, 0x4400, v183
	s_wait_loadcnt 0x4
	v_mul_f32_e32 v217, v134, v222
	v_dual_mul_f32 v218, v133, v222 :: v_dual_fmac_f32 v127, v132, v219
	s_wait_loadcnt_dscnt 0x301
	v_mul_f32_e32 v132, v137, v224
	v_fma_f32 v126, v131, v219, -v126
	v_dual_mul_f32 v131, v138, v224 :: v_dual_add_nc_u32 v222, 0x780, v183
	v_fma_f32 v217, v133, v221, -v217
	s_wait_loadcnt 0x0
	v_dual_mul_f32 v133, v136, v230 :: v_dual_fmac_f32 v132, v138, v223
	s_delay_alu instid0(VALU_DEP_3) | instskip(SKIP_1) | instid1(VALU_DEP_3)
	v_fma_f32 v131, v137, v223, -v131
	v_add_nc_u32_e32 v147, 0x1680, v183
	v_fma_f32 v133, v135, v229, -v133
	s_wait_dscnt 0x0
	v_mul_f32_e32 v219, v123, v226
	v_mul_f32_e32 v220, v122, v226
	;; [unrolled: 1-line block ×3, first 2 shown]
	v_dual_mul_f32 v137, v124, v228 :: v_dual_fmac_f32 v218, v134, v221
	v_mul_f32_e32 v134, v135, v230
	v_fma_f32 v219, v122, v225, -v219
	v_fmac_f32_e32 v220, v123, v225
	v_add_nc_u32_e32 v122, 0x25c0, v183
	s_delay_alu instid0(VALU_DEP_4)
	v_dual_fmac_f32 v137, v125, v227 :: v_dual_fmac_f32 v134, v136, v229
	v_fma_f32 v136, v124, v227, -v138
	ds_store_2addr_b64 v147, v[179:180], v[126:127] offset0:9 offset1:252
	ds_store_2addr_b64 v233, v[131:132], v[219:220] offset0:11 offset1:254
	;; [unrolled: 1-line block ×7, first 2 shown]
	global_wb scope:SCOPE_SE
	s_wait_dscnt 0x0
	s_wait_kmcnt 0x0
	s_barrier_signal -1
	s_barrier_wait -1
	global_inv scope:SCOPE_SE
	ds_load_2addr_b64 v[120:123], v189 offset0:6 offset1:249
	ds_load_2addr_b64 v[131:134], v190 offset0:2 offset1:245
	;; [unrolled: 1-line block ×4, first 2 shown]
	ds_load_2addr_b64 v[124:127], v183 offset1:243
	ds_load_2addr_b64 v[143:146], v185 offset0:6 offset1:249
	ds_load_2addr_b64 v[179:182], v186 offset0:12 offset1:255
	s_wait_dscnt 0x4
	v_dual_sub_f32 v147, v122, v131 :: v_dual_add_f32 v216, v131, v137
	v_sub_f32_e32 v218, v123, v132
	s_wait_dscnt 0x2
	v_dual_add_f32 v220, v124, v122 :: v_dual_add_f32 v221, v125, v123
	s_wait_dscnt 0x0
	v_sub_f32_e32 v231, v134, v180
	v_dual_add_f32 v227, v126, v179 :: v_dual_sub_f32 v222, v132, v138
	v_sub_f32_e32 v223, v131, v137
	v_dual_sub_f32 v224, v131, v122 :: v_dual_add_f32 v131, v220, v131
	v_add_f32_e32 v226, v133, v143
	v_sub_f32_e32 v228, v133, v179
	v_dual_sub_f32 v233, v133, v143 :: v_dual_sub_f32 v234, v179, v133
	v_add_f32_e32 v133, v227, v133
	v_dual_add_f32 v230, v127, v180 :: v_dual_add_f32 v217, v132, v138
	v_dual_sub_f32 v225, v132, v123 :: v_dual_sub_f32 v232, v134, v144
	v_dual_add_f32 v131, v131, v137 :: v_dual_add_f32 v132, v221, v132
	s_delay_alu instid0(VALU_DEP_3) | instskip(SKIP_3) | instid1(VALU_DEP_4)
	v_dual_add_f32 v133, v133, v143 :: v_dual_add_f32 v220, v230, v134
	v_sub_f32_e32 v215, v139, v137
	v_add_f32_e32 v229, v134, v144
	v_sub_f32_e32 v221, v180, v134
	v_add_f32_e32 v133, v133, v141
	v_sub_f32_e32 v227, v123, v140
	v_dual_add_f32 v134, v220, v144 :: v_dual_sub_f32 v235, v143, v141
	v_dual_sub_f32 v220, v122, v139 :: v_dual_sub_f32 v237, v144, v142
	v_dual_add_f32 v131, v131, v139 :: v_dual_add_f32 v132, v132, v138
	v_sub_f32_e32 v137, v137, v139
	v_dual_add_f32 v139, v122, v139 :: v_dual_add_f32 v230, v123, v140
	ds_load_b64 v[122:123], v183 offset:27216
	v_dual_add_f32 v134, v134, v142 :: v_dual_add_f32 v241, v120, v181
	v_dual_add_f32 v236, v180, v142 :: v_dual_sub_f32 v243, v181, v135
	v_sub_f32_e32 v180, v180, v142
	s_delay_alu instid0(VALU_DEP_3)
	v_dual_sub_f32 v238, v179, v141 :: v_dual_add_f32 v241, v241, v135
	v_dual_sub_f32 v142, v142, v144 :: v_dual_add_f32 v245, v136, v146
	v_add_f32_e32 v144, v121, v182
	v_sub_f32_e32 v219, v140, v138
	v_add_f32_e32 v132, v132, v140
	v_sub_f32_e32 v138, v138, v140
	v_dual_add_f32 v140, v179, v141 :: v_dual_sub_f32 v141, v141, v143
	v_dual_sub_f32 v179, v136, v182 :: v_dual_add_f32 v244, v135, v145
	v_dual_sub_f32 v246, v135, v145 :: v_dual_sub_f32 v247, v136, v146
	s_wait_dscnt 0x0
	v_add_f32_e32 v143, v182, v123
	v_sub_f32_e32 v239, v181, v122
	v_add_f32_e32 v240, v181, v122
	v_dual_sub_f32 v242, v182, v123 :: v_dual_sub_f32 v181, v135, v181
	v_dual_sub_f32 v182, v182, v136 :: v_dual_add_f32 v135, v241, v145
	v_dual_sub_f32 v241, v122, v145 :: v_dual_add_f32 v144, v144, v136
	v_sub_f32_e32 v145, v145, v122
	v_add_f32_e32 v147, v147, v215
	s_delay_alu instid0(VALU_DEP_4)
	v_add_f32_e32 v122, v135, v122
	v_fma_f32 v135, -0.5, v216, v124
	v_add_f32_e32 v136, v144, v146
	v_sub_f32_e32 v144, v146, v123
	v_sub_f32_e32 v146, v123, v146
	v_fma_f32 v124, -0.5, v139, v124
	v_add_f32_e32 v221, v221, v142
	v_add_f32_e32 v123, v136, v123
	v_fma_f32 v136, -0.5, v217, v125
	v_dual_add_f32 v217, v218, v219 :: v_dual_add_f32 v218, v224, v137
	v_fma_f32 v137, -0.5, v226, v126
	v_fma_f32 v126, -0.5, v140, v126
	;; [unrolled: 1-line block ×3, first 2 shown]
	v_add_f32_e32 v219, v225, v138
	v_fma_f32 v138, -0.5, v229, v127
	v_fmac_f32_e32 v127, -0.5, v236
	v_fma_f32 v139, -0.5, v244, v120
	v_fma_f32 v140, -0.5, v245, v121
	v_dual_fmac_f32 v121, -0.5, v143 :: v_dual_add_f32 v230, v181, v145
	v_fmamk_f32 v145, v232, 0x3f737871, v126
	s_delay_alu instid0(VALU_DEP_4)
	v_dual_fmac_f32 v126, 0xbf737871, v232 :: v_dual_fmamk_f32 v215, v242, 0xbf737871, v139
	v_fma_f32 v120, -0.5, v240, v120
	v_dual_add_f32 v224, v228, v235 :: v_dual_add_f32 v225, v231, v237
	v_dual_add_f32 v226, v179, v144 :: v_dual_add_f32 v231, v182, v146
	v_dual_add_f32 v228, v234, v141 :: v_dual_fmamk_f32 v143, v227, 0xbf737871, v135
	v_fmamk_f32 v142, v223, 0xbf737871, v125
	v_dual_fmac_f32 v125, 0x3f737871, v223 :: v_dual_fmamk_f32 v144, v220, 0x3f737871, v136
	v_add_f32_e32 v229, v243, v241
	v_fmamk_f32 v141, v222, 0x3f737871, v124
	v_fmac_f32_e32 v124, 0xbf737871, v222
	v_fmac_f32_e32 v135, 0x3f737871, v227
	v_dual_fmac_f32 v136, 0xbf737871, v220 :: v_dual_fmamk_f32 v179, v180, 0xbf737871, v137
	v_fmamk_f32 v146, v233, 0xbf737871, v127
	v_dual_fmac_f32 v127, 0x3f737871, v233 :: v_dual_fmamk_f32 v216, v239, 0x3f737871, v140
	v_fmac_f32_e32 v137, 0x3f737871, v180
	v_fmac_f32_e32 v126, 0x3f167918, v180
	v_fmamk_f32 v181, v247, 0x3f737871, v120
	v_fmac_f32_e32 v120, 0xbf737871, v247
	v_fmac_f32_e32 v139, 0x3f737871, v242
	v_fmamk_f32 v182, v246, 0xbf737871, v121
	v_fmac_f32_e32 v121, 0x3f737871, v246
	v_fmac_f32_e32 v140, 0xbf737871, v239
	;; [unrolled: 1-line block ×3, first 2 shown]
	v_fmamk_f32 v180, v238, 0x3f737871, v138
	v_fmac_f32_e32 v143, 0xbf167918, v222
	v_dual_fmac_f32 v144, 0x3f167918, v223 :: v_dual_fmac_f32 v137, 0x3f167918, v232
	v_fmac_f32_e32 v138, 0xbf737871, v238
	v_fmac_f32_e32 v141, 0xbf167918, v227
	v_dual_fmac_f32 v124, 0x3f167918, v227 :: v_dual_fmac_f32 v135, 0x3f167918, v222
	v_dual_fmac_f32 v142, 0x3f167918, v220 :: v_dual_fmac_f32 v139, 0x3f167918, v247
	;; [unrolled: 1-line block ×3, first 2 shown]
	v_fmac_f32_e32 v146, 0x3f167918, v238
	v_fmac_f32_e32 v127, 0xbf167918, v238
	;; [unrolled: 1-line block ×8, first 2 shown]
	v_dual_fmac_f32 v138, 0xbf167918, v233 :: v_dual_fmac_f32 v215, 0xbf167918, v247
	v_fmac_f32_e32 v216, 0x3f167918, v246
	v_fmac_f32_e32 v140, 0xbf167918, v246
	v_dual_fmac_f32 v143, 0x3e9e377a, v147 :: v_dual_fmac_f32 v144, 0x3e9e377a, v217
	v_dual_fmac_f32 v141, 0x3e9e377a, v218 :: v_dual_fmac_f32 v142, 0x3e9e377a, v219
	;; [unrolled: 1-line block ×11, first 2 shown]
	global_wb scope:SCOPE_SE
	s_barrier_signal -1
	s_barrier_wait -1
	global_inv scope:SCOPE_SE
	v_dual_fmac_f32 v215, 0x3e9e377a, v229 :: v_dual_fmac_f32 v140, 0x3e9e377a, v231
	ds_store_2addr_b64 v128, v[131:132], v[143:144] offset1:1
	ds_store_2addr_b64 v128, v[141:142], v[124:125] offset0:2 offset1:3
	ds_store_b64 v128, v[135:136] offset:32
	ds_store_2addr_b64 v130, v[145:146], v[126:127] offset0:2 offset1:3
	ds_store_2addr_b64 v130, v[133:134], v[179:180] offset1:1
	ds_store_b64 v130, v[137:138] offset:32
	ds_store_b64 v129, v[139:140] offset:32
	ds_store_2addr_b64 v129, v[122:123], v[215:216] offset1:1
	ds_store_2addr_b64 v129, v[181:182], v[120:121] offset0:2 offset1:3
	global_wb scope:SCOPE_SE
	s_wait_dscnt 0x0
	s_barrier_signal -1
	s_barrier_wait -1
	global_inv scope:SCOPE_SE
	ds_load_b64 v[181:182], v183 offset:27216
	ds_load_2addr_b64 v[120:123], v188 offset0:8 offset1:251
	ds_load_2addr_b64 v[124:127], v187 offset0:4 offset1:247
	;; [unrolled: 1-line block ×5, first 2 shown]
	ds_load_2addr_b64 v[140:143], v183 offset1:243
	ds_load_2addr_b64 v[136:139], v189 offset0:6 offset1:249
	v_mad_co_u64_u32 v[179:180], null, s6, v178, 0
	global_wb scope:SCOPE_SE
	s_wait_dscnt 0x0
	s_barrier_signal -1
	s_barrier_wait -1
	global_inv scope:SCOPE_SE
	v_dual_mul_f32 v215, v79, v182 :: v_dual_mul_f32 v216, v77, v123
	v_mul_f32_e32 v77, v77, v122
	v_mul_f32_e32 v220, v69, v131
	;; [unrolled: 1-line block ×6, first 2 shown]
	v_dual_fmac_f32 v220, v68, v130 :: v_dual_mul_f32 v221, v65, v129
	v_dual_mul_f32 v65, v65, v128 :: v_dual_mul_f32 v222, v67, v147
	v_mul_f32_e32 v223, v63, v144
	v_dual_mul_f32 v63, v63, v145 :: v_dual_fmac_f32 v216, v76, v122
	v_fma_f32 v76, v76, v123, -v77
	s_delay_alu instid0(VALU_DEP_4)
	v_fmac_f32_e32 v222, v66, v146
	v_fmac_f32_e32 v61, v60, v134
	v_dual_mul_f32 v73, v73, v120 :: v_dual_mul_f32 v218, v75, v127
	v_mul_f32_e32 v75, v75, v126
	v_mul_f32_e32 v219, v71, v125
	;; [unrolled: 1-line block ×3, first 2 shown]
	v_dual_mul_f32 v67, v67, v146 :: v_dual_add_f32 v122, v136, v220
	v_fma_f32 v68, v68, v131, -v69
	v_fma_f32 v69, v62, v145, -v223
	v_fmac_f32_e32 v63, v62, v144
	v_add_f32_e32 v144, v133, v76
	v_add_f32_e32 v62, v140, v61
	v_fmac_f32_e32 v217, v72, v120
	v_fmac_f32_e32 v221, v64, v128
	v_fma_f32 v64, v64, v129, -v65
	v_fma_f32 v65, v60, v135, -v224
	v_mul_f32_e32 v79, v79, v181
	v_fma_f32 v72, v72, v121, -v73
	v_fmac_f32_e32 v218, v74, v126
	v_fma_f32 v73, v74, v127, -v75
	v_fma_f32 v66, v66, v147, -v67
	v_fmac_f32_e32 v219, v70, v124
	v_fma_f32 v70, v70, v125, -v71
	v_add_f32_e32 v60, v141, v65
	s_delay_alu instid0(VALU_DEP_4) | instskip(SKIP_1) | instid1(VALU_DEP_4)
	v_dual_fmac_f32 v215, v78, v181 :: v_dual_sub_f32 v120, v64, v66
	v_fma_f32 v78, v78, v182, -v79
	v_dual_sub_f32 v77, v65, v69 :: v_dual_add_f32 v126, v68, v70
	s_delay_alu instid0(VALU_DEP_3)
	v_dual_add_f32 v67, v65, v69 :: v_dual_add_f32 v134, v216, v215
	v_add_f32_e32 v74, v64, v66
	v_dual_sub_f32 v124, v68, v70 :: v_dual_add_f32 v71, v61, v63
	v_dual_sub_f32 v130, v72, v73 :: v_dual_sub_f32 v79, v61, v63
	v_dual_add_f32 v125, v137, v68 :: v_dual_sub_f32 v146, v76, v78
	v_dual_add_f32 v61, v60, v69 :: v_dual_add_f32 v60, v62, v63
	v_dual_add_f32 v65, v143, v64 :: v_dual_add_f32 v128, v217, v218
	v_add_f32_e32 v68, v138, v217
	v_dual_add_f32 v64, v142, v221 :: v_dual_add_f32 v75, v221, v222
	v_add_f32_e32 v129, v139, v72
	s_delay_alu instid0(VALU_DEP_4) | instskip(SKIP_1) | instid1(VALU_DEP_4)
	v_fma_f32 v138, -0.5, v128, v138
	v_add_f32_e32 v72, v72, v73
	v_add_f32_e32 v62, v64, v222
	;; [unrolled: 1-line block ×3, first 2 shown]
	v_fma_f32 v142, -0.5, v75, v142
	v_add_f32_e32 v145, v76, v78
	v_add_f32_e32 v63, v65, v66
	v_fma_f32 v66, -0.5, v71, v140
	v_add_f32_e32 v123, v220, v219
	v_fma_f32 v67, -0.5, v67, v141
	v_dual_sub_f32 v131, v217, v218 :: v_dual_fmamk_f32 v76, v120, 0xbf5db3d7, v142
	v_add_f32_e32 v135, v132, v216
	v_dual_fmac_f32 v143, -0.5, v74 :: v_dual_fmac_f32 v142, 0x3f5db3d7, v120
	v_dual_fmamk_f32 v120, v130, 0xbf5db3d7, v138 :: v_dual_sub_f32 v121, v221, v222
	v_sub_f32_e32 v127, v220, v219
	v_fma_f32 v71, -0.5, v126, v137
	v_fma_f32 v132, -0.5, v134, v132
	v_add_f32_e32 v65, v125, v70
	v_fmac_f32_e32 v139, -0.5, v72
	v_dual_fmac_f32 v133, -0.5, v145 :: v_dual_fmamk_f32 v74, v77, 0xbf5db3d7, v66
	v_fma_f32 v70, -0.5, v123, v136
	v_sub_f32_e32 v147, v216, v215
	v_dual_fmamk_f32 v75, v79, 0x3f5db3d7, v67 :: v_dual_fmac_f32 v66, 0x3f5db3d7, v77
	v_fmac_f32_e32 v67, 0xbf5db3d7, v79
	v_dual_add_f32 v72, v135, v215 :: v_dual_fmamk_f32 v77, v121, 0x3f5db3d7, v143
	v_dual_fmac_f32 v143, 0xbf5db3d7, v121 :: v_dual_add_f32 v68, v68, v218
	v_add_f32_e32 v69, v129, v73
	v_add_f32_e32 v73, v144, v78
	v_fmamk_f32 v78, v124, 0xbf5db3d7, v70
	v_dual_fmac_f32 v70, 0x3f5db3d7, v124 :: v_dual_fmamk_f32 v79, v127, 0x3f5db3d7, v71
	v_dual_fmac_f32 v71, 0xbf5db3d7, v127 :: v_dual_fmamk_f32 v122, v146, 0xbf5db3d7, v132
	;; [unrolled: 1-line block ×3, first 2 shown]
	v_fmamk_f32 v123, v147, 0x3f5db3d7, v133
	v_fmac_f32_e32 v133, 0xbf5db3d7, v147
	v_fmac_f32_e32 v138, 0x3f5db3d7, v130
	;; [unrolled: 1-line block ×3, first 2 shown]
	ds_store_2addr_b64 v201, v[60:61], v[74:75] offset1:5
	ds_store_b64 v201, v[66:67] offset:80
	ds_store_2addr_b64 v204, v[62:63], v[76:77] offset1:5
	ds_store_b64 v204, v[142:143] offset:80
	;; [unrolled: 2-line block ×5, first 2 shown]
	global_wb scope:SCOPE_SE
	s_wait_dscnt 0x0
	s_barrier_signal -1
	s_barrier_wait -1
	global_inv scope:SCOPE_SE
	ds_load_2addr_b64 v[62:65], v186 offset0:12 offset1:255
	ds_load_2addr_b64 v[66:69], v185 offset0:6 offset1:249
	;; [unrolled: 1-line block ×5, first 2 shown]
	ds_load_b64 v[132:133], v183 offset:27216
	ds_load_2addr_b64 v[124:127], v183 offset1:243
	ds_load_2addr_b64 v[128:131], v189 offset0:6 offset1:249
	global_wb scope:SCOPE_SE
	s_wait_dscnt 0x0
	s_barrier_signal -1
	s_barrier_wait -1
	global_inv scope:SCOPE_SE
	v_mov_b32_e32 v78, v180
	v_mad_co_u64_u32 v[60:61], null, s4, v184, 0
	v_mul_f32_e32 v138, v51, v75
	v_mul_f32_e32 v140, v45, v121
	v_mul_f32_e32 v142, v43, v133
	v_mul_f32_e32 v136, v53, v71
	v_mul_f32_e32 v134, v59, v67
	v_dual_fmac_f32 v138, v50, v74 :: v_dual_mul_f32 v141, v41, v123
	v_mul_f32_e32 v41, v41, v122
	v_dual_mul_f32 v139, v47, v77 :: v_dual_fmac_f32 v142, v42, v132
	v_fmac_f32_e32 v140, v44, v120
	s_delay_alu instid0(VALU_DEP_4) | instskip(SKIP_3) | instid1(VALU_DEP_4)
	v_fmac_f32_e32 v141, v40, v122
	v_mul_f32_e32 v47, v47, v76
	v_fma_f32 v40, v40, v123, -v41
	v_mul_f32_e32 v45, v45, v120
	v_dual_fmac_f32 v139, v46, v76 :: v_dual_add_f32 v76, v141, v142
	s_delay_alu instid0(VALU_DEP_4) | instskip(SKIP_1) | instid1(VALU_DEP_4)
	v_fma_f32 v46, v46, v77, -v47
	v_mul_f32_e32 v51, v51, v74
	v_fma_f32 v44, v44, v121, -v45
	v_mul_f32_e32 v53, v53, v70
	v_mul_f32_e32 v137, v49, v73
	v_dual_mul_f32 v49, v49, v72 :: v_dual_sub_f32 v74, v140, v139
	v_fmac_f32_e32 v136, v52, v70
	s_delay_alu instid0(VALU_DEP_4)
	v_fma_f32 v52, v52, v71, -v53
	v_mul_f32_e32 v135, v55, v69
	v_fmac_f32_e32 v137, v48, v72
	v_fma_f32 v48, v48, v73, -v49
	v_fmac_f32_e32 v134, v58, v66
	v_sub_f32_e32 v71, v44, v46
	v_fmac_f32_e32 v135, v54, v68
	v_mul_f32_e32 v79, v57, v65
	v_dual_mul_f32 v59, v59, v66 :: v_dual_add_f32 v66, v129, v48
	v_fma_f32 v49, v50, v75, -v51
	v_mul_f32_e32 v55, v55, v68
	v_add_f32_e32 v47, v128, v137
	v_dual_add_f32 v72, v44, v46 :: v_dual_add_f32 v75, v62, v141
	s_delay_alu instid0(VALU_DEP_4) | instskip(NEXT) | instid1(VALU_DEP_4)
	v_add_f32_e32 v68, v48, v49
	v_fma_f32 v54, v54, v69, -v55
	v_add_f32_e32 v69, v130, v140
	v_fmac_f32_e32 v79, v56, v64
	v_dual_mul_f32 v57, v57, v64 :: v_dual_sub_f32 v64, v136, v135
	v_fma_f32 v62, -0.5, v76, v62
	s_delay_alu instid0(VALU_DEP_2) | instskip(SKIP_4) | instid1(VALU_DEP_4)
	v_fma_f32 v56, v56, v65, -v57
	v_fma_f32 v57, v58, v67, -v59
	v_dual_sub_f32 v67, v48, v49 :: v_dual_add_f32 v48, v131, v44
	v_add_f32_e32 v44, v47, v138
	v_sub_f32_e32 v59, v52, v54
	v_add_f32_e32 v51, v56, v57
	v_fmac_f32_e32 v131, -0.5, v72
	v_dual_add_f32 v47, v48, v46 :: v_dual_add_f32 v46, v69, v139
	v_add_f32_e32 v41, v124, v79
	v_mul_f32_e32 v43, v43, v132
	v_add_f32_e32 v50, v79, v134
	s_delay_alu instid0(VALU_DEP_2) | instskip(SKIP_2) | instid1(VALU_DEP_4)
	v_fma_f32 v53, v42, v133, -v43
	v_add_f32_e32 v42, v125, v56
	v_add_f32_e32 v43, v126, v136
	v_fma_f32 v48, -0.5, v50, v124
	s_delay_alu instid0(VALU_DEP_4) | instskip(SKIP_1) | instid1(VALU_DEP_1)
	v_sub_f32_e32 v77, v40, v53
	v_dual_add_f32 v45, v127, v52 :: v_dual_add_f32 v52, v52, v54
	v_dual_add_f32 v120, v40, v53 :: v_dual_fmac_f32 v127, -0.5, v52
	v_add_f32_e32 v52, v75, v142
	v_add_f32_e32 v58, v136, v135
	s_delay_alu instid0(VALU_DEP_1) | instskip(SKIP_3) | instid1(VALU_DEP_3)
	v_fma_f32 v126, -0.5, v58, v126
	v_dual_sub_f32 v55, v56, v57 :: v_dual_sub_f32 v56, v79, v134
	v_dual_add_f32 v79, v63, v40 :: v_dual_add_f32 v40, v41, v134
	v_dual_add_f32 v41, v42, v57 :: v_dual_add_f32 v42, v43, v135
	v_dual_add_f32 v43, v45, v54 :: v_dual_fmamk_f32 v54, v55, 0xbf5db3d7, v48
	v_add_f32_e32 v65, v137, v138
	v_dual_add_f32 v45, v66, v49 :: v_dual_fmac_f32 v48, 0x3f5db3d7, v55
	v_dual_add_f32 v73, v140, v139 :: v_dual_fmamk_f32 v66, v77, 0xbf5db3d7, v62
	v_fmac_f32_e32 v62, 0x3f5db3d7, v77
	s_delay_alu instid0(VALU_DEP_4) | instskip(SKIP_1) | instid1(VALU_DEP_4)
	v_fma_f32 v50, -0.5, v65, v128
	v_sub_f32_e32 v70, v137, v138
	v_fma_f32 v130, -0.5, v73, v130
	v_fmac_f32_e32 v63, -0.5, v120
	v_fmamk_f32 v57, v64, 0x3f5db3d7, v127
	v_fmamk_f32 v58, v67, 0xbf5db3d7, v50
	v_fmac_f32_e32 v50, 0x3f5db3d7, v67
	v_fma_f32 v49, -0.5, v51, v125
	v_fma_f32 v51, -0.5, v68, v129
	v_dual_fmac_f32 v127, 0xbf5db3d7, v64 :: v_dual_fmamk_f32 v64, v71, 0xbf5db3d7, v130
	s_delay_alu instid0(VALU_DEP_3)
	v_dual_fmac_f32 v130, 0x3f5db3d7, v71 :: v_dual_fmamk_f32 v55, v56, 0x3f5db3d7, v49
	v_dual_fmac_f32 v49, 0xbf5db3d7, v56 :: v_dual_fmamk_f32 v56, v59, 0xbf5db3d7, v126
	v_dual_sub_f32 v121, v141, v142 :: v_dual_fmac_f32 v126, 0x3f5db3d7, v59
	v_fmamk_f32 v59, v70, 0x3f5db3d7, v51
	v_add_f32_e32 v53, v79, v53
	v_fmac_f32_e32 v51, 0xbf5db3d7, v70
	v_fmamk_f32 v65, v74, 0x3f5db3d7, v131
	v_fmac_f32_e32 v131, 0xbf5db3d7, v74
	v_fmamk_f32 v67, v121, 0x3f5db3d7, v63
	v_fmac_f32_e32 v63, 0xbf5db3d7, v121
	ds_store_2addr_b64 v196, v[40:41], v[54:55] offset1:15
	ds_store_b64 v196, v[48:49] offset:240
	ds_store_2addr_b64 v198, v[42:43], v[56:57] offset1:15
	ds_store_b64 v198, v[126:127] offset:240
	;; [unrolled: 2-line block ×5, first 2 shown]
	global_wb scope:SCOPE_SE
	s_wait_dscnt 0x0
	s_barrier_signal -1
	s_barrier_wait -1
	global_inv scope:SCOPE_SE
	ds_load_2addr_b64 v[40:43], v186 offset0:12 offset1:255
	ds_load_2addr_b64 v[44:47], v185 offset0:6 offset1:249
	;; [unrolled: 1-line block ×4, first 2 shown]
	v_mad_co_u64_u32 v[69:70], null, s5, v184, v[61:62]
	s_wait_dscnt 0x3
	v_mul_f32_e32 v72, v17, v43
	s_wait_dscnt 0x1
	v_mul_f32_e32 v76, v9, v51
	v_mul_f32_e32 v9, v9, v50
	s_wait_dscnt 0x0
	v_dual_mul_f32 v77, v11, v53 :: v_dual_fmac_f32 v72, v16, v42
	v_mad_co_u64_u32 v[56:57], null, s7, v178, v[78:79]
	v_mul_f32_e32 v11, v11, v52
	v_mul_f32_e32 v79, v7, v55
	;; [unrolled: 1-line block ×3, first 2 shown]
	v_fmac_f32_e32 v76, v8, v50
	v_fma_f32 v8, v8, v51, -v9
	v_fma_f32 v9, v10, v53, -v11
	v_mov_b32_e32 v180, v56
	ds_load_2addr_b64 v[56:59], v188 offset0:8 offset1:251
	ds_load_2addr_b64 v[61:64], v183 offset1:243
	ds_load_2addr_b64 v[65:68], v189 offset0:6 offset1:249
	ds_load_b64 v[70:71], v183 offset:27216
	v_fma_f32 v11, v6, v55, -v7
	v_fmac_f32_e32 v77, v10, v52
	v_dual_fmac_f32 v79, v6, v54 :: v_dual_mul_f32 v74, v13, v49
	v_mul_f32_e32 v13, v13, v48
	v_mul_f32_e32 v73, v19, v45
	global_wb scope:SCOPE_SE
	s_wait_dscnt 0x0
	s_barrier_signal -1
	v_fmac_f32_e32 v74, v12, v48
	v_fma_f32 v12, v12, v49, -v13
	v_fmac_f32_e32 v73, v18, v44
	s_barrier_wait -1
	global_inv scope:SCOPE_SE
	s_mov_b32 s6, 0x8098d3d3
	s_mov_b32 s7, 0x3f31facd
	v_mul_f32_e32 v78, v5, v57
	v_mul_f32_e32 v5, v5, v56
	;; [unrolled: 1-line block ×3, first 2 shown]
	v_add_f32_e32 v6, v63, v74
	v_add_f32_e32 v10, v64, v12
	v_fmac_f32_e32 v78, v4, v56
	v_fma_f32 v4, v4, v57, -v5
	s_delay_alu instid0(VALU_DEP_2) | instskip(NEXT) | instid1(VALU_DEP_2)
	v_dual_fmac_f32 v120, v0, v58 :: v_dual_sub_f32 v53, v78, v79
	v_add_f32_e32 v52, v4, v11
	v_mul_f32_e32 v75, v15, v47
	v_add_f32_e32 v51, v68, v4
	s_delay_alu instid0(VALU_DEP_4) | instskip(NEXT) | instid1(VALU_DEP_4)
	v_dual_add_f32 v49, v78, v79 :: v_dual_add_f32 v54, v40, v120
	v_dual_fmac_f32 v68, -0.5, v52 :: v_dual_mul_f32 v121, v3, v71
	v_add_f32_e32 v48, v67, v78
	v_sub_f32_e32 v50, v4, v11
	s_delay_alu instid0(VALU_DEP_4) | instskip(SKIP_4) | instid1(VALU_DEP_3)
	v_fma_f32 v67, -0.5, v49, v67
	v_mul_f32_e32 v1, v1, v58
	v_fmac_f32_e32 v121, v2, v70
	v_mul_f32_e32 v15, v15, v46
	v_add_f32_e32 v11, v51, v11
	v_add_f32_e32 v55, v120, v121
	s_delay_alu instid0(VALU_DEP_3) | instskip(SKIP_1) | instid1(VALU_DEP_3)
	v_fma_f32 v13, v14, v47, -v15
	v_sub_f32_e32 v47, v76, v77
	v_fma_f32 v40, -0.5, v55, v40
	v_fmac_f32_e32 v75, v14, v46
	v_mul_f32_e32 v17, v17, v42
	v_add_f32_e32 v42, v65, v76
	v_mul_f32_e32 v19, v19, v44
	s_delay_alu instid0(VALU_DEP_4) | instskip(NEXT) | instid1(VALU_DEP_4)
	v_dual_mul_f32 v3, v3, v70 :: v_dual_add_f32 v4, v6, v75
	v_fma_f32 v16, v16, v43, -v17
	s_delay_alu instid0(VALU_DEP_4) | instskip(NEXT) | instid1(VALU_DEP_4)
	v_add_f32_e32 v6, v42, v77
	v_fma_f32 v17, v18, v45, -v19
	s_delay_alu instid0(VALU_DEP_4) | instskip(NEXT) | instid1(VALU_DEP_4)
	v_fma_f32 v14, v2, v71, -v3
	v_dual_add_f32 v2, v72, v73 :: v_dual_add_f32 v3, v62, v16
	v_add_f32_e32 v7, v74, v75
	s_delay_alu instid0(VALU_DEP_4)
	v_add_f32_e32 v5, v16, v17
	v_dual_add_f32 v43, v76, v77 :: v_dual_fmamk_f32 v42, v50, 0xbf5db3d7, v67
	v_fma_f32 v0, v0, v59, -v1
	v_add_f32_e32 v1, v61, v72
	v_sub_f32_e32 v15, v16, v17
	v_sub_f32_e32 v16, v72, v73
	;; [unrolled: 1-line block ×3, first 2 shown]
	v_add_f32_e32 v12, v12, v13
	v_dual_sub_f32 v44, v8, v9 :: v_dual_add_f32 v45, v66, v8
	v_add_f32_e32 v46, v8, v9
	v_dual_sub_f32 v56, v0, v14 :: v_dual_add_f32 v57, v41, v0
	v_add_f32_e32 v58, v0, v14
	v_add_f32_e32 v0, v1, v73
	v_fma_f32 v2, -0.5, v2, v61
	v_add_f32_e32 v1, v3, v17
	v_fma_f32 v3, -0.5, v5, v62
	v_fma_f32 v63, -0.5, v7, v63
	;; [unrolled: 1-line block ×3, first 2 shown]
	v_dual_add_f32 v5, v10, v13 :: v_dual_fmac_f32 v64, -0.5, v12
	v_dual_add_f32 v13, v57, v14 :: v_dual_fmamk_f32 v14, v15, 0xbf5db3d7, v2
	v_dual_fmac_f32 v2, 0x3f5db3d7, v15 :: v_dual_fmamk_f32 v15, v16, 0x3f5db3d7, v3
	v_fmac_f32_e32 v3, 0xbf5db3d7, v16
	v_fmamk_f32 v16, v18, 0xbf5db3d7, v63
	v_fmac_f32_e32 v63, 0x3f5db3d7, v18
	v_fmamk_f32 v18, v44, 0xbf5db3d7, v8
	;; [unrolled: 2-line block ×3, first 2 shown]
	v_dual_fmac_f32 v40, 0x3f5db3d7, v56 :: v_dual_sub_f32 v19, v74, v75
	v_add_f32_e32 v7, v45, v9
	v_fma_f32 v9, -0.5, v46, v66
	v_sub_f32_e32 v59, v120, v121
	v_fmac_f32_e32 v41, -0.5, v58
	v_fmamk_f32 v17, v19, 0x3f5db3d7, v64
	v_fmac_f32_e32 v64, 0xbf5db3d7, v19
	v_dual_fmamk_f32 v19, v47, 0x3f5db3d7, v9 :: v_dual_add_f32 v10, v48, v79
	v_dual_add_f32 v12, v54, v121 :: v_dual_fmac_f32 v9, 0xbf5db3d7, v47
	v_fmac_f32_e32 v67, 0x3f5db3d7, v50
	v_fmamk_f32 v43, v53, 0x3f5db3d7, v68
	v_fmac_f32_e32 v68, 0xbf5db3d7, v53
	v_fmamk_f32 v45, v59, 0x3f5db3d7, v41
	v_fmac_f32_e32 v41, 0xbf5db3d7, v59
	ds_store_2addr_b64 v195, v[0:1], v[14:15] offset1:45
	ds_store_b64 v195, v[2:3] offset:720
	ds_store_2addr_b64 v191, v[4:5], v[16:17] offset1:45
	ds_store_b64 v191, v[63:64] offset:720
	;; [unrolled: 2-line block ×5, first 2 shown]
	v_lshlrev_b64_e32 v[16:17], 3, v[179:180]
	global_wb scope:SCOPE_SE
	s_wait_dscnt 0x0
	s_barrier_signal -1
	s_barrier_wait -1
	global_inv scope:SCOPE_SE
	ds_load_2addr_b64 v[0:3], v186 offset0:12 offset1:255
	v_add_co_u32 v52, vcc_lo, s2, v16
	ds_load_2addr_b64 v[4:7], v185 offset0:6 offset1:249
	ds_load_2addr_b64 v[8:11], v190 offset0:2 offset1:245
	ds_load_2addr_b64 v[12:15], v187 offset0:4 offset1:247
	s_wait_alu 0xfffd
	v_add_co_ci_u32_e32 v53, vcc_lo, s3, v17, vcc_lo
	ds_load_2addr_b64 v[16:19], v188 offset0:8 offset1:251
	ds_load_2addr_b64 v[40:43], v183 offset1:243
	ds_load_2addr_b64 v[44:47], v189 offset0:6 offset1:249
	ds_load_b64 v[50:51], v183 offset:27216
	global_wb scope:SCOPE_SE
	s_wait_dscnt 0x0
	s_barrier_signal -1
	s_barrier_wait -1
	global_inv scope:SCOPE_SE
	s_mul_i32 s2, s5, 0xffffac78
	s_wait_alu 0xfffe
	s_sub_co_i32 s2, s2, s4
	v_mul_f32_e32 v54, v37, v3
	v_mul_f32_e32 v37, v37, v2
	;; [unrolled: 1-line block ×5, first 2 shown]
	v_fmac_f32_e32 v54, v36, v2
	v_fma_f32 v2, v36, v3, -v37
	v_mul_f32_e32 v63, v23, v51
	s_delay_alu instid0(VALU_DEP_4) | instskip(SKIP_2) | instid1(VALU_DEP_4)
	v_dual_mul_f32 v57, v35, v7 :: v_dual_fmac_f32 v62, v20, v18
	v_mul_f32_e32 v35, v35, v6
	v_mul_f32_e32 v39, v39, v4
	v_fmac_f32_e32 v63, v22, v50
	v_mul_f32_e32 v21, v21, v18
	v_dual_add_f32 v36, v0, v62 :: v_dual_fmac_f32 v55, v38, v4
	v_fma_f32 v7, v34, v7, -v35
	s_delay_alu instid0(VALU_DEP_4) | instskip(SKIP_2) | instid1(VALU_DEP_3)
	v_dual_add_f32 v37, v62, v63 :: v_dual_fmac_f32 v56, v32, v8
	v_mul_f32_e32 v23, v23, v50
	v_dual_fmac_f32 v57, v34, v6 :: v_dual_mul_f32 v58, v29, v11
	v_fma_f32 v0, -0.5, v37, v0
	v_mul_f32_e32 v33, v33, v8
	v_fma_f32 v8, v20, v19, -v21
	v_mul_f32_e32 v59, v31, v13
	v_mul_f32_e32 v31, v31, v12
	;; [unrolled: 1-line block ×3, first 2 shown]
	v_fma_f32 v4, v32, v9, -v33
	s_delay_alu instid0(VALU_DEP_4) | instskip(NEXT) | instid1(VALU_DEP_4)
	v_dual_fmac_f32 v58, v28, v10 :: v_dual_fmac_f32 v59, v30, v12
	v_fma_f32 v9, v30, v13, -v31
	v_add_f32_e32 v19, v56, v57
	s_delay_alu instid0(VALU_DEP_4) | instskip(SKIP_3) | instid1(VALU_DEP_4)
	v_dual_sub_f32 v20, v4, v7 :: v_dual_mov_b32 v61, v69
	v_dual_add_f32 v21, v43, v4 :: v_dual_add_f32 v10, v40, v54
	v_add_f32_e32 v12, v41, v2
	v_sub_f32_e32 v18, v54, v55
	v_lshlrev_b64_e32 v[48:49], 3, v[60:61]
	v_dual_mul_f32 v60, v25, v17 :: v_dual_mul_f32 v61, v27, v15
	v_mul_f32_e32 v25, v25, v16
	s_delay_alu instid0(VALU_DEP_2) | instskip(NEXT) | instid1(VALU_DEP_3)
	v_dual_mul_f32 v27, v27, v14 :: v_dual_fmac_f32 v60, v24, v16
	v_fmac_f32_e32 v61, v26, v14
	s_delay_alu instid0(VALU_DEP_3) | instskip(NEXT) | instid1(VALU_DEP_3)
	v_fma_f32 v6, v24, v17, -v25
	v_fma_f32 v13, v26, v15, -v27
	;; [unrolled: 1-line block ×3, first 2 shown]
	v_add_f32_e32 v22, v4, v7
	v_dual_add_f32 v31, v60, v61 :: v_dual_add_f32 v30, v46, v60
	s_delay_alu instid0(VALU_DEP_4) | instskip(SKIP_1) | instid1(VALU_DEP_4)
	v_sub_f32_e32 v32, v6, v13
	v_add_f32_e32 v25, v58, v59
	v_fmac_f32_e32 v43, -0.5, v22
	s_delay_alu instid0(VALU_DEP_4) | instskip(SKIP_3) | instid1(VALU_DEP_4)
	v_fma_f32 v46, -0.5, v31, v46
	v_add_f32_e32 v34, v6, v13
	v_add_f32_e32 v50, v8, v15
	v_dual_add_f32 v16, v42, v56 :: v_dual_sub_f32 v23, v56, v57
	v_fmamk_f32 v22, v32, 0xbf5db3d7, v46
	v_fma_f32 v3, v38, v5, -v39
	v_fma_f32 v5, v28, v11, -v29
	v_add_f32_e32 v11, v54, v55
	v_fma_f32 v42, -0.5, v19, v42
	v_add_f32_e32 v24, v44, v58
	v_add_f32_e32 v14, v2, v3
	v_dual_add_f32 v28, v5, v9 :: v_dual_sub_f32 v17, v2, v3
	v_sub_f32_e32 v26, v5, v9
	v_add_f32_e32 v27, v45, v5
	v_fma_f32 v4, -0.5, v11, v40
	v_fma_f32 v5, -0.5, v14, v41
	v_sub_f32_e32 v29, v58, v59
	v_add_f32_e32 v33, v47, v6
	v_sub_f32_e32 v35, v60, v61
	v_dual_sub_f32 v38, v8, v15 :: v_dual_add_f32 v39, v1, v8
	v_sub_f32_e32 v51, v62, v63
	v_add_f32_e32 v2, v10, v55
	v_fma_f32 v10, -0.5, v25, v44
	v_fma_f32 v11, -0.5, v28, v45
	v_fmac_f32_e32 v47, -0.5, v34
	v_fmac_f32_e32 v1, -0.5, v50
	v_add_f32_e32 v3, v12, v3
	v_add_f32_e32 v6, v16, v57
	v_fmamk_f32 v16, v17, 0xbf5db3d7, v4
	v_dual_fmac_f32 v4, 0x3f5db3d7, v17 :: v_dual_fmamk_f32 v17, v18, 0x3f5db3d7, v5
	v_fmac_f32_e32 v5, 0xbf5db3d7, v18
	v_dual_add_f32 v7, v21, v7 :: v_dual_fmamk_f32 v18, v20, 0xbf5db3d7, v42
	v_dual_fmamk_f32 v19, v23, 0x3f5db3d7, v43 :: v_dual_fmac_f32 v42, 0x3f5db3d7, v20
	v_fmac_f32_e32 v43, 0xbf5db3d7, v23
	v_dual_add_f32 v8, v24, v59 :: v_dual_add_f32 v9, v27, v9
	v_add_f32_e32 v12, v30, v61
	v_dual_add_f32 v13, v33, v13 :: v_dual_add_f32 v14, v36, v63
	v_dual_add_f32 v15, v39, v15 :: v_dual_fmamk_f32 v20, v26, 0xbf5db3d7, v10
	v_dual_fmac_f32 v10, 0x3f5db3d7, v26 :: v_dual_fmamk_f32 v21, v29, 0x3f5db3d7, v11
	v_fmac_f32_e32 v11, 0xbf5db3d7, v29
	v_fmamk_f32 v23, v35, 0x3f5db3d7, v47
	v_fmamk_f32 v24, v38, 0xbf5db3d7, v0
	v_dual_fmamk_f32 v25, v51, 0x3f5db3d7, v1 :: v_dual_fmac_f32 v46, 0x3f5db3d7, v32
	v_fmac_f32_e32 v47, 0xbf5db3d7, v35
	v_fmac_f32_e32 v0, 0x3f5db3d7, v38
	;; [unrolled: 1-line block ×3, first 2 shown]
	ds_store_2addr_b64 v202, v[2:3], v[16:17] offset1:135
	ds_store_b64 v202, v[4:5] offset:2160
	ds_store_2addr_b64 v207, v[6:7], v[18:19] offset1:135
	ds_store_b64 v207, v[42:43] offset:2160
	ds_store_2addr_b64 v208, v[8:9], v[20:21] offset1:135
	ds_store_b64 v208, v[10:11] offset:2160
	ds_store_2addr_b64 v210, v[12:13], v[22:23] offset1:135
	ds_store_b64 v210, v[46:47] offset:2160
	ds_store_2addr_b64 v209, v[14:15], v[24:25] offset1:135
	ds_store_b64 v209, v[0:1] offset:2160
	global_wb scope:SCOPE_SE
	s_wait_dscnt 0x0
	s_barrier_signal -1
	s_barrier_wait -1
	global_inv scope:SCOPE_SE
	ds_load_2addr_b64 v[4:7], v186 offset0:12 offset1:255
	ds_load_2addr_b64 v[8:11], v185 offset0:6 offset1:249
	;; [unrolled: 1-line block ×5, first 2 shown]
	ds_load_2addr_b64 v[24:27], v183 offset1:243
	ds_load_2addr_b64 v[28:31], v189 offset0:6 offset1:249
	ds_load_b64 v[32:33], v183 offset:27216
	v_add_co_u32 v0, vcc_lo, v52, v48
	s_wait_alu 0xfffd
	v_add_co_ci_u32_e32 v1, vcc_lo, v53, v49, vcc_lo
	global_wb scope:SCOPE_SE
	s_wait_dscnt 0x0
	s_barrier_signal -1
	s_barrier_wait -1
	global_inv scope:SCOPE_SE
	v_add_co_u32 v2, vcc_lo, v0, s0
	s_wait_alu 0xfffd
	v_add_co_ci_u32_e32 v3, vcc_lo, s1, v1, vcc_lo
	v_mul_f32_e32 v34, v93, v7
	v_mul_f32_e32 v50, v97, v23
	;; [unrolled: 1-line block ×4, first 2 shown]
	v_dual_mul_f32 v52, v99, v33 :: v_dual_mul_f32 v39, v89, v12
	v_mul_f32_e32 v45, v83, v16
	v_mul_f32_e32 v49, v87, v18
	;; [unrolled: 1-line block ×3, first 2 shown]
	v_dual_mul_f32 v53, v99, v32 :: v_dual_fmac_f32 v50, v96, v22
	v_fmac_f32_e32 v52, v98, v32
	v_mul_f32_e32 v37, v95, v8
	v_mul_f32_e32 v44, v83, v17
	;; [unrolled: 1-line block ×3, first 2 shown]
	v_fmac_f32_e32 v36, v94, v8
	v_fmac_f32_e32 v38, v88, v12
	v_fma_f32 v8, v88, v13, -v39
	v_fma_f32 v13, v82, v17, -v45
	;; [unrolled: 1-line block ×5, first 2 shown]
	v_dual_add_f32 v55, v50, v52 :: v_dual_add_f32 v54, v4, v50
	v_mul_f32_e32 v40, v91, v11
	v_mul_f32_e32 v42, v81, v15
	s_delay_alu instid0(VALU_DEP_4) | instskip(NEXT) | instid1(VALU_DEP_4)
	v_sub_f32_e32 v56, v12, v19
	v_fma_f32 v4, -0.5, v55, v4
	v_mul_f32_e32 v35, v93, v6
	v_mul_f32_e32 v41, v91, v10
	v_mul_f32_e32 v43, v81, v14
	v_mul_f32_e32 v46, v85, v21
	v_dual_mul_f32 v47, v85, v20 :: v_dual_fmac_f32 v34, v92, v6
	v_fma_f32 v6, v92, v7, -v35
	v_fma_f32 v7, v94, v9, -v37
	v_fmac_f32_e32 v40, v90, v10
	v_fma_f32 v11, v90, v11, -v41
	v_fmac_f32_e32 v42, v80, v14
	;; [unrolled: 2-line block ×3, first 2 shown]
	v_fmac_f32_e32 v46, v84, v20
	v_fma_f32 v10, v84, v21, -v47
	v_fmac_f32_e32 v48, v86, v18
	v_add_f32_e32 v15, v34, v36
	v_add_f32_e32 v18, v6, v7
	;; [unrolled: 1-line block ×3, first 2 shown]
	v_sub_f32_e32 v22, v34, v36
	v_add_f32_e32 v20, v26, v38
	v_dual_add_f32 v23, v38, v40 :: v_dual_add_f32 v34, v8, v11
	v_sub_f32_e32 v35, v38, v40
	v_dual_add_f32 v38, v42, v44 :: v_dual_add_f32 v43, v9, v13
	v_add_f32_e32 v47, v46, v48
	v_dual_add_f32 v53, v10, v17 :: v_dual_add_f32 v16, v25, v6
	v_add_f32_e32 v58, v12, v19
	v_sub_f32_e32 v21, v6, v7
	v_dual_sub_f32 v32, v8, v11 :: v_dual_add_f32 v33, v27, v8
	v_sub_f32_e32 v39, v9, v13
	v_add_f32_e32 v41, v29, v9
	v_fma_f32 v8, -0.5, v15, v24
	v_fma_f32 v9, -0.5, v18, v25
	v_dual_add_f32 v37, v28, v42 :: v_dual_sub_f32 v42, v42, v44
	v_add_f32_e32 v45, v30, v46
	v_sub_f32_e32 v49, v10, v17
	v_dual_add_f32 v51, v31, v10 :: v_dual_sub_f32 v46, v46, v48
	v_add_f32_e32 v57, v5, v12
	v_add_f32_e32 v6, v14, v36
	v_fma_f32 v26, -0.5, v23, v26
	v_fmac_f32_e32 v27, -0.5, v34
	v_fma_f32 v14, -0.5, v38, v28
	v_fma_f32 v15, -0.5, v43, v29
	;; [unrolled: 1-line block ×3, first 2 shown]
	v_dual_fmac_f32 v31, -0.5, v53 :: v_dual_sub_f32 v50, v50, v52
	v_add_f32_e32 v7, v16, v7
	v_dual_fmac_f32 v5, -0.5, v58 :: v_dual_add_f32 v10, v20, v40
	v_fmamk_f32 v20, v21, 0xbf5db3d7, v8
	v_dual_fmac_f32 v8, 0x3f5db3d7, v21 :: v_dual_fmamk_f32 v21, v22, 0x3f5db3d7, v9
	v_fmac_f32_e32 v9, 0xbf5db3d7, v22
	v_add_f32_e32 v11, v33, v11
	v_add_f32_e32 v12, v37, v44
	;; [unrolled: 1-line block ×3, first 2 shown]
	v_dual_add_f32 v16, v45, v48 :: v_dual_add_f32 v17, v51, v17
	v_dual_add_f32 v18, v54, v52 :: v_dual_add_f32 v19, v57, v19
	v_fmamk_f32 v22, v32, 0xbf5db3d7, v26
	v_dual_fmac_f32 v26, 0x3f5db3d7, v32 :: v_dual_fmamk_f32 v23, v35, 0x3f5db3d7, v27
	v_dual_fmac_f32 v27, 0xbf5db3d7, v35 :: v_dual_fmamk_f32 v24, v39, 0xbf5db3d7, v14
	;; [unrolled: 1-line block ×4, first 2 shown]
	v_dual_fmamk_f32 v29, v46, 0x3f5db3d7, v31 :: v_dual_fmac_f32 v30, 0x3f5db3d7, v49
	v_dual_fmac_f32 v31, 0xbf5db3d7, v46 :: v_dual_fmamk_f32 v32, v56, 0xbf5db3d7, v4
	v_dual_fmac_f32 v4, 0x3f5db3d7, v56 :: v_dual_fmamk_f32 v33, v50, 0x3f5db3d7, v5
	v_fmac_f32_e32 v5, 0xbf5db3d7, v50
	ds_store_b64 v183, v[6:7]
	ds_store_b64 v183, v[20:21] offset:3240
	ds_store_b64 v183, v[8:9] offset:6480
	ds_store_b64 v213, v[10:11]
	ds_store_b64 v213, v[22:23] offset:3240
	ds_store_b64 v213, v[26:27] offset:6480
	;; [unrolled: 1-line block ×5, first 2 shown]
	ds_store_b64 v212, v[16:17]
	ds_store_b64 v212, v[28:29] offset:3240
	ds_store_b64 v212, v[30:31] offset:6480
	;; [unrolled: 1-line block ×5, first 2 shown]
	global_wb scope:SCOPE_SE
	s_wait_dscnt 0x0
	s_barrier_signal -1
	s_barrier_wait -1
	global_inv scope:SCOPE_SE
	ds_load_2addr_b64 v[10:13], v186 offset0:12 offset1:255
	ds_load_2addr_b64 v[14:17], v185 offset0:6 offset1:249
	ds_load_2addr_b64 v[18:21], v190 offset0:2 offset1:245
	ds_load_2addr_b64 v[26:29], v188 offset0:8 offset1:251
	ds_load_2addr_b64 v[22:25], v187 offset0:4 offset1:247
	ds_load_2addr_b64 v[30:33], v183 offset1:243
	ds_load_b64 v[38:39], v183 offset:27216
	ds_load_2addr_b64 v[34:37], v189 offset0:6 offset1:249
	v_add_co_u32 v4, vcc_lo, v2, s0
	s_wait_alu 0xfffd
	v_add_co_ci_u32_e32 v5, vcc_lo, s1, v3, vcc_lo
	s_delay_alu instid0(VALU_DEP_2) | instskip(SKIP_1) | instid1(VALU_DEP_2)
	v_add_co_u32 v6, vcc_lo, v4, s0
	s_wait_alu 0xfffd
	v_add_co_ci_u32_e32 v7, vcc_lo, s1, v5, vcc_lo
	s_delay_alu instid0(VALU_DEP_2) | instskip(SKIP_1) | instid1(VALU_DEP_2)
	v_add_co_u32 v8, vcc_lo, v6, s0
	s_wait_alu 0xfffd
	v_add_co_ci_u32_e32 v9, vcc_lo, s1, v7, vcc_lo
	s_wait_dscnt 0x7
	v_mul_f32_e32 v40, v105, v13
	s_wait_dscnt 0x6
	v_mul_f32_e32 v46, v103, v17
	;; [unrolled: 2-line block ×5, first 2 shown]
	v_mul_f32_e32 v52, v113, v27
	v_dual_mul_f32 v54, v115, v25 :: v_dual_mul_f32 v57, v117, v28
	v_fmac_f32_e32 v56, v116, v28
	s_delay_alu instid0(VALU_DEP_4) | instskip(SKIP_3) | instid1(VALU_DEP_4)
	v_fmac_f32_e32 v58, v118, v38
	v_fmac_f32_e32 v44, v100, v18
	;; [unrolled: 1-line block ×3, first 2 shown]
	v_dual_mul_f32 v42, v107, v15 :: v_dual_mul_f32 v45, v101, v18
	v_dual_add_f32 v61, v56, v58 :: v_dual_mul_f32 v48, v109, v21
	v_dual_mul_f32 v50, v111, v23 :: v_dual_mul_f32 v53, v113, v26
	v_fmac_f32_e32 v52, v112, v26
	v_fmac_f32_e32 v54, v114, v24
	v_fma_f32 v18, v116, v29, -v57
	v_dual_add_f32 v29, v44, v46 :: v_dual_add_f32 v60, v10, v56
	v_fma_f32 v10, -0.5, v61, v10
	v_mul_f32_e32 v51, v111, v22
	v_mul_f32_e32 v55, v115, v24
	;; [unrolled: 1-line block ×3, first 2 shown]
	v_dual_mul_f32 v43, v107, v14 :: v_dual_fmac_f32 v40, v104, v12
	v_fmac_f32_e32 v42, v106, v14
	v_fma_f32 v14, v100, v19, -v45
	v_fmac_f32_e32 v48, v108, v20
	v_fmac_f32_e32 v50, v110, v22
	v_fma_f32 v19, v110, v23, -v51
	v_fma_f32 v23, v114, v25, -v55
	v_add_f32_e32 v26, v32, v44
	v_fma_f32 v32, -0.5, v29, v32
	v_mul_f32_e32 v47, v103, v16
	v_fma_f32 v16, v112, v27, -v53
	v_add_f32_e32 v53, v52, v54
	v_fma_f32 v12, v104, v13, -v41
	v_fma_f32 v13, v106, v15, -v43
	v_sub_f32_e32 v41, v44, v46
	v_add_f32_e32 v44, v48, v50
	s_wait_dscnt 0x0
	v_add_f32_e32 v51, v36, v52
	v_sub_f32_e32 v55, v16, v23
	v_fma_f32 v36, -0.5, v53, v36
	v_mul_f32_e32 v49, v109, v20
	v_dual_add_f32 v20, v30, v40 :: v_dual_mul_f32 v59, v119, v38
	v_fma_f32 v17, v102, v17, -v47
	v_dual_sub_f32 v27, v12, v13 :: v_dual_add_f32 v22, v31, v12
	v_dual_add_f32 v24, v12, v13 :: v_dual_add_f32 v43, v34, v48
	s_delay_alu instid0(VALU_DEP_4)
	v_add_f32_e32 v12, v20, v42
	v_fma_f32 v20, -0.5, v44, v34
	v_fmamk_f32 v34, v55, 0xbf5db3d7, v36
	v_fmac_f32_e32 v36, 0x3f5db3d7, v55
	v_fma_f32 v15, v108, v21, -v49
	v_fma_f32 v25, v118, v39, -v59
	v_add_f32_e32 v21, v40, v42
	v_sub_f32_e32 v28, v40, v42
	s_delay_alu instid0(VALU_DEP_4) | instskip(NEXT) | instid1(VALU_DEP_4)
	v_dual_add_f32 v40, v14, v17 :: v_dual_add_f32 v49, v15, v19
	v_add_f32_e32 v64, v18, v25
	v_dual_sub_f32 v38, v14, v17 :: v_dual_add_f32 v39, v33, v14
	v_sub_f32_e32 v45, v15, v19
	v_add_f32_e32 v47, v35, v15
	v_add_f32_e32 v59, v16, v23
	v_fma_f32 v14, -0.5, v21, v30
	v_fma_f32 v15, -0.5, v24, v31
	v_dual_sub_f32 v48, v48, v50 :: v_dual_fmac_f32 v33, -0.5, v40
	v_fma_f32 v21, -0.5, v49, v35
	v_dual_sub_f32 v62, v18, v25 :: v_dual_add_f32 v63, v11, v18
	v_dual_sub_f32 v56, v56, v58 :: v_dual_fmac_f32 v11, -0.5, v64
	v_dual_add_f32 v57, v37, v16 :: v_dual_sub_f32 v52, v52, v54
	v_dual_add_f32 v16, v26, v46 :: v_dual_fmac_f32 v37, -0.5, v59
	v_fmamk_f32 v26, v27, 0xbf5db3d7, v14
	v_dual_fmac_f32 v14, 0x3f5db3d7, v27 :: v_dual_fmamk_f32 v27, v28, 0x3f5db3d7, v15
	v_fmac_f32_e32 v15, 0xbf5db3d7, v28
	v_add_f32_e32 v13, v22, v13
	v_dual_add_f32 v17, v39, v17 :: v_dual_fmamk_f32 v28, v38, 0xbf5db3d7, v32
	v_fmamk_f32 v29, v41, 0x3f5db3d7, v33
	v_fmamk_f32 v30, v45, 0xbf5db3d7, v20
	v_dual_fmamk_f32 v31, v48, 0x3f5db3d7, v21 :: v_dual_add_f32 v18, v43, v50
	v_dual_add_f32 v19, v47, v19 :: v_dual_fmac_f32 v32, 0x3f5db3d7, v38
	v_fmac_f32_e32 v33, 0xbf5db3d7, v41
	v_fmac_f32_e32 v20, 0x3f5db3d7, v45
	v_dual_fmac_f32 v21, 0xbf5db3d7, v48 :: v_dual_fmamk_f32 v38, v62, 0xbf5db3d7, v10
	v_dual_fmac_f32 v10, 0x3f5db3d7, v62 :: v_dual_fmamk_f32 v39, v56, 0x3f5db3d7, v11
	v_dual_fmac_f32 v11, 0xbf5db3d7, v56 :: v_dual_add_f32 v22, v51, v54
	v_dual_add_f32 v23, v57, v23 :: v_dual_add_f32 v24, v60, v58
	v_add_f32_e32 v25, v63, v25
	v_fmamk_f32 v35, v52, 0x3f5db3d7, v37
	v_fmac_f32_e32 v37, 0xbf5db3d7, v52
	ds_store_b64 v183, v[26:27] offset:9720
	ds_store_b64 v183, v[14:15] offset:19440
	ds_store_2addr_b64 v183, v[12:13], v[16:17] offset1:243
	ds_store_2addr_b64 v190, v[28:29], v[30:31] offset0:2 offset1:245
	ds_store_2addr_b64 v214, v[32:33], v[20:21] offset0:1 offset1:244
	;; [unrolled: 1-line block ×3, first 2 shown]
	ds_store_b64 v183, v[36:37] offset:25272
	ds_store_b64 v183, v[24:25] offset:7776
	ds_store_2addr_b64 v188, v[34:35], v[38:39] offset0:8 offset1:251
	ds_store_b64 v183, v[10:11] offset:27216
	global_wb scope:SCOPE_SE
	s_wait_dscnt 0x0
	s_barrier_signal -1
	s_barrier_wait -1
	global_inv scope:SCOPE_SE
	ds_load_2addr_b64 v[10:13], v183 offset1:243
	ds_load_2addr_b64 v[14:17], v189 offset0:6 offset1:249
	ds_load_2addr_b64 v[18:21], v190 offset0:2 offset1:245
	;; [unrolled: 1-line block ×6, first 2 shown]
	ds_load_b64 v[42:43], v183 offset:27216
	v_mad_co_u64_u32 v[38:39], null, 0xffffac78, s4, v[8:9]
	s_wait_alu 0xfffe
	s_delay_alu instid0(VALU_DEP_1) | instskip(NEXT) | instid1(VALU_DEP_2)
	v_add_nc_u32_e32 v39, s2, v39
	v_add_co_u32 v40, vcc_lo, v38, s0
	s_wait_dscnt 0x7
	v_mul_f32_e32 v44, v159, v11
	s_wait_dscnt 0x6
	v_dual_mul_f32 v45, v159, v10 :: v_dual_mul_f32 v46, v153, v17
	s_wait_dscnt 0x5
	v_dual_mul_f32 v47, v153, v16 :: v_dual_mul_f32 v48, v151, v19
	;; [unrolled: 2-line block ×4, first 2 shown]
	v_dual_mul_f32 v53, v155, v26 :: v_dual_mul_f32 v54, v157, v13
	v_dual_mul_f32 v55, v157, v12 :: v_dual_fmac_f32 v44, v158, v10
	v_fma_f32 v45, v158, v11, -v45
	s_wait_dscnt 0x2
	v_mul_f32_e32 v56, v161, v31
	v_mul_f32_e32 v57, v161, v30
	s_wait_dscnt 0x1
	v_mul_f32_e32 v61, v171, v34
	v_mul_f32_e32 v64, v167, v15
	v_dual_mul_f32 v65, v167, v14 :: v_dual_fmac_f32 v46, v152, v16
	v_fma_f32 v16, v152, v17, -v47
	v_mul_f32_e32 v58, v163, v21
	s_delay_alu instid0(VALU_DEP_4)
	v_dual_fmac_f32 v64, v166, v14 :: v_dual_mul_f32 v59, v163, v20
	v_fmac_f32_e32 v48, v150, v18
	v_fma_f32 v47, v150, v19, -v49
	v_mul_f32_e32 v60, v171, v35
	v_mul_f32_e32 v68, v175, v23
	v_dual_mul_f32 v69, v175, v22 :: v_dual_fmac_f32 v50, v148, v24
	v_fma_f32 v24, v148, v25, -v51
	v_mul_f32_e32 v62, v165, v29
	v_dual_mul_f32 v63, v165, v28 :: v_dual_fmac_f32 v52, v154, v26
	v_fma_f32 v49, v154, v27, -v53
	v_mul_f32_e32 v66, v169, v33
	v_mul_f32_e32 v67, v169, v32
	v_fmac_f32_e32 v54, v156, v12
	v_fma_f32 v51, v156, v13, -v55
	v_cvt_f64_f32_e32 v[10:11], v44
	v_cvt_f64_f32_e32 v[12:13], v45
	v_mul_f32_e32 v70, v173, v37
	v_dual_mul_f32 v71, v173, v36 :: v_dual_fmac_f32 v56, v160, v30
	v_fma_f32 v53, v160, v31, -v57
	v_fma_f32 v57, v170, v35, -v61
	;; [unrolled: 1-line block ×3, first 2 shown]
	v_cvt_f64_f32_e32 v[14:15], v46
	v_cvt_f64_f32_e32 v[16:17], v16
	s_wait_dscnt 0x0
	v_mul_f32_e32 v72, v177, v43
	v_dual_mul_f32 v73, v177, v42 :: v_dual_fmac_f32 v58, v162, v20
	v_fma_f32 v55, v162, v21, -v59
	v_cvt_f64_f32_e32 v[18:19], v48
	v_cvt_f64_f32_e32 v[20:21], v47
	v_fmac_f32_e32 v60, v170, v34
	v_fmac_f32_e32 v68, v174, v22
	v_fma_f32 v65, v174, v23, -v69
	v_cvt_f64_f32_e32 v[22:23], v50
	v_cvt_f64_f32_e32 v[24:25], v24
	v_fmac_f32_e32 v62, v164, v28
	v_fma_f32 v59, v164, v29, -v63
	v_cvt_f64_f32_e32 v[26:27], v52
	v_cvt_f64_f32_e32 v[28:29], v49
	;; [unrolled: 4-line block ×5, first 2 shown]
	v_cvt_f64_f32_e32 v[46:47], v60
	v_cvt_f64_f32_e32 v[48:49], v57
	;; [unrolled: 1-line block ×14, first 2 shown]
	v_mul_f64_e32 v[10:11], s[6:7], v[10:11]
	v_mul_f64_e32 v[12:13], s[6:7], v[12:13]
	;; [unrolled: 1-line block ×8, first 2 shown]
	s_wait_alu 0xfffd
	v_add_co_ci_u32_e32 v41, vcc_lo, s1, v39, vcc_lo
	v_mul_f64_e32 v[26:27], s[6:7], v[26:27]
	v_mul_f64_e32 v[28:29], s[6:7], v[28:29]
	v_add_co_u32 v74, vcc_lo, v40, s0
	v_mul_f64_e32 v[30:31], s[6:7], v[30:31]
	v_mul_f64_e32 v[32:33], s[6:7], v[32:33]
	s_wait_alu 0xfffd
	v_add_co_ci_u32_e32 v75, vcc_lo, s1, v41, vcc_lo
	v_mul_f64_e32 v[34:35], s[6:7], v[34:35]
	v_mul_f64_e32 v[36:37], s[6:7], v[36:37]
	v_add_co_u32 v76, vcc_lo, v74, s0
	v_mul_f64_e32 v[42:43], s[6:7], v[42:43]
	v_mul_f64_e32 v[44:45], s[6:7], v[44:45]
	;; [unrolled: 1-line block ×16, first 2 shown]
	s_wait_alu 0xfffd
	v_add_co_ci_u32_e32 v77, vcc_lo, s1, v75, vcc_lo
	v_cvt_f32_f64_e32 v10, v[10:11]
	v_cvt_f32_f64_e32 v11, v[12:13]
	;; [unrolled: 1-line block ×6, first 2 shown]
	v_add_co_u32 v78, vcc_lo, v76, s0
	v_cvt_f32_f64_e32 v16, v[22:23]
	v_cvt_f32_f64_e32 v17, v[24:25]
	;; [unrolled: 1-line block ×4, first 2 shown]
	s_wait_alu 0xfffd
	v_add_co_ci_u32_e32 v79, vcc_lo, s1, v77, vcc_lo
	v_cvt_f32_f64_e32 v20, v[30:31]
	v_cvt_f32_f64_e32 v21, v[32:33]
	;; [unrolled: 1-line block ×4, first 2 shown]
	v_mad_co_u64_u32 v[80:81], null, 0xffffac78, s4, v[78:79]
	v_cvt_f32_f64_e32 v24, v[42:43]
	v_cvt_f32_f64_e32 v25, v[44:45]
	v_cvt_f32_f64_e32 v26, v[46:47]
	v_cvt_f32_f64_e32 v27, v[48:49]
	v_cvt_f32_f64_e32 v28, v[50:51]
	v_cvt_f32_f64_e32 v29, v[52:53]
	v_cvt_f32_f64_e32 v30, v[54:55]
	v_cvt_f32_f64_e32 v31, v[56:57]
	v_cvt_f32_f64_e32 v32, v[58:59]
	v_cvt_f32_f64_e32 v33, v[60:61]
	v_cvt_f32_f64_e32 v34, v[62:63]
	v_cvt_f32_f64_e32 v35, v[64:65]
	v_cvt_f32_f64_e32 v36, v[66:67]
	v_cvt_f32_f64_e32 v37, v[68:69]
	v_cvt_f32_f64_e32 v42, v[70:71]
	v_cvt_f32_f64_e32 v43, v[72:73]
	v_add_nc_u32_e32 v81, s2, v81
	v_add_co_u32 v44, vcc_lo, v80, s0
	s_wait_alu 0xfffd
	s_delay_alu instid0(VALU_DEP_2) | instskip(NEXT) | instid1(VALU_DEP_2)
	v_add_co_ci_u32_e32 v45, vcc_lo, s1, v81, vcc_lo
	v_add_co_u32 v46, vcc_lo, v44, s0
	s_wait_alu 0xfffd
	s_delay_alu instid0(VALU_DEP_2) | instskip(NEXT) | instid1(VALU_DEP_2)
	v_add_co_ci_u32_e32 v47, vcc_lo, s1, v45, vcc_lo
	;; [unrolled: 4-line block ×3, first 2 shown]
	v_add_co_u32 v50, vcc_lo, v48, s0
	s_wait_alu 0xfffd
	s_delay_alu instid0(VALU_DEP_2)
	v_add_co_ci_u32_e32 v51, vcc_lo, s1, v49, vcc_lo
	s_clause 0x4
	global_store_b64 v[0:1], v[10:11], off
	global_store_b64 v[2:3], v[12:13], off
	;; [unrolled: 1-line block ×15, first 2 shown]
.LBB0_2:
	s_nop 0
	s_sendmsg sendmsg(MSG_DEALLOC_VGPRS)
	s_endpgm
	.section	.rodata,"a",@progbits
	.p2align	6, 0x0
	.amdhsa_kernel bluestein_single_back_len3645_dim1_sp_op_CI_CI
		.amdhsa_group_segment_fixed_size 29160
		.amdhsa_private_segment_fixed_size 0
		.amdhsa_kernarg_size 104
		.amdhsa_user_sgpr_count 2
		.amdhsa_user_sgpr_dispatch_ptr 0
		.amdhsa_user_sgpr_queue_ptr 0
		.amdhsa_user_sgpr_kernarg_segment_ptr 1
		.amdhsa_user_sgpr_dispatch_id 0
		.amdhsa_user_sgpr_private_segment_size 0
		.amdhsa_wavefront_size32 1
		.amdhsa_uses_dynamic_stack 0
		.amdhsa_enable_private_segment 0
		.amdhsa_system_sgpr_workgroup_id_x 1
		.amdhsa_system_sgpr_workgroup_id_y 0
		.amdhsa_system_sgpr_workgroup_id_z 0
		.amdhsa_system_sgpr_workgroup_info 0
		.amdhsa_system_vgpr_workitem_id 0
		.amdhsa_next_free_vgpr 248
		.amdhsa_next_free_sgpr 20
		.amdhsa_reserve_vcc 1
		.amdhsa_float_round_mode_32 0
		.amdhsa_float_round_mode_16_64 0
		.amdhsa_float_denorm_mode_32 3
		.amdhsa_float_denorm_mode_16_64 3
		.amdhsa_fp16_overflow 0
		.amdhsa_workgroup_processor_mode 1
		.amdhsa_memory_ordered 1
		.amdhsa_forward_progress 0
		.amdhsa_round_robin_scheduling 0
		.amdhsa_exception_fp_ieee_invalid_op 0
		.amdhsa_exception_fp_denorm_src 0
		.amdhsa_exception_fp_ieee_div_zero 0
		.amdhsa_exception_fp_ieee_overflow 0
		.amdhsa_exception_fp_ieee_underflow 0
		.amdhsa_exception_fp_ieee_inexact 0
		.amdhsa_exception_int_div_zero 0
	.end_amdhsa_kernel
	.text
.Lfunc_end0:
	.size	bluestein_single_back_len3645_dim1_sp_op_CI_CI, .Lfunc_end0-bluestein_single_back_len3645_dim1_sp_op_CI_CI
                                        ; -- End function
	.section	.AMDGPU.csdata,"",@progbits
; Kernel info:
; codeLenInByte = 18212
; NumSgprs: 22
; NumVgprs: 248
; ScratchSize: 0
; MemoryBound: 0
; FloatMode: 240
; IeeeMode: 1
; LDSByteSize: 29160 bytes/workgroup (compile time only)
; SGPRBlocks: 2
; VGPRBlocks: 30
; NumSGPRsForWavesPerEU: 22
; NumVGPRsForWavesPerEU: 248
; Occupancy: 5
; WaveLimiterHint : 1
; COMPUTE_PGM_RSRC2:SCRATCH_EN: 0
; COMPUTE_PGM_RSRC2:USER_SGPR: 2
; COMPUTE_PGM_RSRC2:TRAP_HANDLER: 0
; COMPUTE_PGM_RSRC2:TGID_X_EN: 1
; COMPUTE_PGM_RSRC2:TGID_Y_EN: 0
; COMPUTE_PGM_RSRC2:TGID_Z_EN: 0
; COMPUTE_PGM_RSRC2:TIDIG_COMP_CNT: 0
	.text
	.p2alignl 7, 3214868480
	.fill 96, 4, 3214868480
	.type	__hip_cuid_e633f1567da62696,@object ; @__hip_cuid_e633f1567da62696
	.section	.bss,"aw",@nobits
	.globl	__hip_cuid_e633f1567da62696
__hip_cuid_e633f1567da62696:
	.byte	0                               ; 0x0
	.size	__hip_cuid_e633f1567da62696, 1

	.ident	"AMD clang version 19.0.0git (https://github.com/RadeonOpenCompute/llvm-project roc-6.4.0 25133 c7fe45cf4b819c5991fe208aaa96edf142730f1d)"
	.section	".note.GNU-stack","",@progbits
	.addrsig
	.addrsig_sym __hip_cuid_e633f1567da62696
	.amdgpu_metadata
---
amdhsa.kernels:
  - .args:
      - .actual_access:  read_only
        .address_space:  global
        .offset:         0
        .size:           8
        .value_kind:     global_buffer
      - .actual_access:  read_only
        .address_space:  global
        .offset:         8
        .size:           8
        .value_kind:     global_buffer
      - .actual_access:  read_only
        .address_space:  global
        .offset:         16
        .size:           8
        .value_kind:     global_buffer
      - .actual_access:  read_only
        .address_space:  global
        .offset:         24
        .size:           8
        .value_kind:     global_buffer
      - .actual_access:  read_only
        .address_space:  global
        .offset:         32
        .size:           8
        .value_kind:     global_buffer
      - .offset:         40
        .size:           8
        .value_kind:     by_value
      - .address_space:  global
        .offset:         48
        .size:           8
        .value_kind:     global_buffer
      - .address_space:  global
        .offset:         56
        .size:           8
        .value_kind:     global_buffer
      - .address_space:  global
        .offset:         64
        .size:           8
        .value_kind:     global_buffer
      - .address_space:  global
        .offset:         72
        .size:           8
        .value_kind:     global_buffer
      - .offset:         80
        .size:           4
        .value_kind:     by_value
      - .address_space:  global
        .offset:         88
        .size:           8
        .value_kind:     global_buffer
      - .address_space:  global
        .offset:         96
        .size:           8
        .value_kind:     global_buffer
    .group_segment_fixed_size: 29160
    .kernarg_segment_align: 8
    .kernarg_segment_size: 104
    .language:       OpenCL C
    .language_version:
      - 2
      - 0
    .max_flat_workgroup_size: 243
    .name:           bluestein_single_back_len3645_dim1_sp_op_CI_CI
    .private_segment_fixed_size: 0
    .sgpr_count:     22
    .sgpr_spill_count: 0
    .symbol:         bluestein_single_back_len3645_dim1_sp_op_CI_CI.kd
    .uniform_work_group_size: 1
    .uses_dynamic_stack: false
    .vgpr_count:     248
    .vgpr_spill_count: 0
    .wavefront_size: 32
    .workgroup_processor_mode: 1
amdhsa.target:   amdgcn-amd-amdhsa--gfx1201
amdhsa.version:
  - 1
  - 2
...

	.end_amdgpu_metadata
